;; amdgpu-corpus repo=ROCm/rocFFT kind=compiled arch=gfx906 opt=O3
	.text
	.amdgcn_target "amdgcn-amd-amdhsa--gfx906"
	.amdhsa_code_object_version 6
	.protected	fft_rtc_back_len1260_factors_2_2_3_3_5_7_wgs_63_tpt_63_halfLds_dp_op_CI_CI_unitstride_sbrr_C2R_dirReg ; -- Begin function fft_rtc_back_len1260_factors_2_2_3_3_5_7_wgs_63_tpt_63_halfLds_dp_op_CI_CI_unitstride_sbrr_C2R_dirReg
	.globl	fft_rtc_back_len1260_factors_2_2_3_3_5_7_wgs_63_tpt_63_halfLds_dp_op_CI_CI_unitstride_sbrr_C2R_dirReg
	.p2align	8
	.type	fft_rtc_back_len1260_factors_2_2_3_3_5_7_wgs_63_tpt_63_halfLds_dp_op_CI_CI_unitstride_sbrr_C2R_dirReg,@function
fft_rtc_back_len1260_factors_2_2_3_3_5_7_wgs_63_tpt_63_halfLds_dp_op_CI_CI_unitstride_sbrr_C2R_dirReg: ; @fft_rtc_back_len1260_factors_2_2_3_3_5_7_wgs_63_tpt_63_halfLds_dp_op_CI_CI_unitstride_sbrr_C2R_dirReg
; %bb.0:
	s_load_dwordx4 s[8:11], s[4:5], 0x58
	s_load_dwordx4 s[12:15], s[4:5], 0x0
	;; [unrolled: 1-line block ×3, first 2 shown]
	v_mul_u32_u24_e32 v1, 0x411, v0
	v_add_u32_sdwa v5, s6, v1 dst_sel:DWORD dst_unused:UNUSED_PAD src0_sel:DWORD src1_sel:WORD_1
	v_mov_b32_e32 v3, 0
	s_waitcnt lgkmcnt(0)
	v_cmp_lt_u64_e64 s[0:1], s[14:15], 2
	v_mov_b32_e32 v1, 0
	v_mov_b32_e32 v6, v3
	s_and_b64 vcc, exec, s[0:1]
	v_mov_b32_e32 v2, 0
	s_cbranch_vccnz .LBB0_8
; %bb.1:
	s_load_dwordx2 s[0:1], s[4:5], 0x10
	s_add_u32 s2, s18, 8
	s_addc_u32 s3, s19, 0
	s_add_u32 s6, s16, 8
	v_mov_b32_e32 v1, 0
	s_addc_u32 s7, s17, 0
	v_mov_b32_e32 v2, 0
	s_waitcnt lgkmcnt(0)
	s_add_u32 s20, s0, 8
	v_mov_b32_e32 v85, v2
	s_addc_u32 s21, s1, 0
	s_mov_b64 s[22:23], 1
	v_mov_b32_e32 v84, v1
.LBB0_2:                                ; =>This Inner Loop Header: Depth=1
	s_load_dwordx2 s[24:25], s[20:21], 0x0
                                        ; implicit-def: $vgpr88_vgpr89
	s_waitcnt lgkmcnt(0)
	v_or_b32_e32 v4, s25, v6
	v_cmp_ne_u64_e32 vcc, 0, v[3:4]
	s_and_saveexec_b64 s[0:1], vcc
	s_xor_b64 s[26:27], exec, s[0:1]
	s_cbranch_execz .LBB0_4
; %bb.3:                                ;   in Loop: Header=BB0_2 Depth=1
	v_cvt_f32_u32_e32 v4, s24
	v_cvt_f32_u32_e32 v7, s25
	s_sub_u32 s0, 0, s24
	s_subb_u32 s1, 0, s25
	v_mac_f32_e32 v4, 0x4f800000, v7
	v_rcp_f32_e32 v4, v4
	v_mul_f32_e32 v4, 0x5f7ffffc, v4
	v_mul_f32_e32 v7, 0x2f800000, v4
	v_trunc_f32_e32 v7, v7
	v_mac_f32_e32 v4, 0xcf800000, v7
	v_cvt_u32_f32_e32 v7, v7
	v_cvt_u32_f32_e32 v4, v4
	v_mul_lo_u32 v8, s0, v7
	v_mul_hi_u32 v9, s0, v4
	v_mul_lo_u32 v11, s1, v4
	v_mul_lo_u32 v10, s0, v4
	v_add_u32_e32 v8, v9, v8
	v_add_u32_e32 v8, v8, v11
	v_mul_hi_u32 v9, v4, v10
	v_mul_lo_u32 v11, v4, v8
	v_mul_hi_u32 v13, v4, v8
	v_mul_hi_u32 v12, v7, v10
	v_mul_lo_u32 v10, v7, v10
	v_mul_hi_u32 v14, v7, v8
	v_add_co_u32_e32 v9, vcc, v9, v11
	v_addc_co_u32_e32 v11, vcc, 0, v13, vcc
	v_mul_lo_u32 v8, v7, v8
	v_add_co_u32_e32 v9, vcc, v9, v10
	v_addc_co_u32_e32 v9, vcc, v11, v12, vcc
	v_addc_co_u32_e32 v10, vcc, 0, v14, vcc
	v_add_co_u32_e32 v8, vcc, v9, v8
	v_addc_co_u32_e32 v9, vcc, 0, v10, vcc
	v_add_co_u32_e32 v4, vcc, v4, v8
	v_addc_co_u32_e32 v7, vcc, v7, v9, vcc
	v_mul_lo_u32 v8, s0, v7
	v_mul_hi_u32 v9, s0, v4
	v_mul_lo_u32 v10, s1, v4
	v_mul_lo_u32 v11, s0, v4
	v_add_u32_e32 v8, v9, v8
	v_add_u32_e32 v8, v8, v10
	v_mul_lo_u32 v12, v4, v8
	v_mul_hi_u32 v13, v4, v11
	v_mul_hi_u32 v14, v4, v8
	v_mul_hi_u32 v10, v7, v11
	v_mul_lo_u32 v11, v7, v11
	v_mul_hi_u32 v9, v7, v8
	v_add_co_u32_e32 v12, vcc, v13, v12
	v_addc_co_u32_e32 v13, vcc, 0, v14, vcc
	v_mul_lo_u32 v8, v7, v8
	v_add_co_u32_e32 v11, vcc, v12, v11
	v_addc_co_u32_e32 v10, vcc, v13, v10, vcc
	v_addc_co_u32_e32 v9, vcc, 0, v9, vcc
	v_add_co_u32_e32 v8, vcc, v10, v8
	v_addc_co_u32_e32 v9, vcc, 0, v9, vcc
	v_add_co_u32_e32 v4, vcc, v4, v8
	v_addc_co_u32_e32 v9, vcc, v7, v9, vcc
	v_mad_u64_u32 v[7:8], s[0:1], v5, v9, 0
	v_mul_hi_u32 v10, v5, v4
	v_add_co_u32_e32 v11, vcc, v10, v7
	v_addc_co_u32_e32 v12, vcc, 0, v8, vcc
	v_mad_u64_u32 v[7:8], s[0:1], v6, v4, 0
	v_mad_u64_u32 v[9:10], s[0:1], v6, v9, 0
	v_add_co_u32_e32 v4, vcc, v11, v7
	v_addc_co_u32_e32 v4, vcc, v12, v8, vcc
	v_addc_co_u32_e32 v7, vcc, 0, v10, vcc
	v_add_co_u32_e32 v4, vcc, v4, v9
	v_addc_co_u32_e32 v9, vcc, 0, v7, vcc
	v_mul_lo_u32 v10, s25, v4
	v_mul_lo_u32 v11, s24, v9
	v_mad_u64_u32 v[7:8], s[0:1], s24, v4, 0
	v_add3_u32 v8, v8, v11, v10
	v_sub_u32_e32 v10, v6, v8
	v_mov_b32_e32 v11, s25
	v_sub_co_u32_e32 v7, vcc, v5, v7
	v_subb_co_u32_e64 v10, s[0:1], v10, v11, vcc
	v_subrev_co_u32_e64 v11, s[0:1], s24, v7
	v_subbrev_co_u32_e64 v10, s[0:1], 0, v10, s[0:1]
	v_cmp_le_u32_e64 s[0:1], s25, v10
	v_cndmask_b32_e64 v12, 0, -1, s[0:1]
	v_cmp_le_u32_e64 s[0:1], s24, v11
	v_cndmask_b32_e64 v11, 0, -1, s[0:1]
	v_cmp_eq_u32_e64 s[0:1], s25, v10
	v_cndmask_b32_e64 v10, v12, v11, s[0:1]
	v_add_co_u32_e64 v11, s[0:1], 2, v4
	v_addc_co_u32_e64 v12, s[0:1], 0, v9, s[0:1]
	v_add_co_u32_e64 v13, s[0:1], 1, v4
	v_addc_co_u32_e64 v14, s[0:1], 0, v9, s[0:1]
	v_subb_co_u32_e32 v8, vcc, v6, v8, vcc
	v_cmp_ne_u32_e64 s[0:1], 0, v10
	v_cmp_le_u32_e32 vcc, s25, v8
	v_cndmask_b32_e64 v10, v14, v12, s[0:1]
	v_cndmask_b32_e64 v12, 0, -1, vcc
	v_cmp_le_u32_e32 vcc, s24, v7
	v_cndmask_b32_e64 v7, 0, -1, vcc
	v_cmp_eq_u32_e32 vcc, s25, v8
	v_cndmask_b32_e32 v7, v12, v7, vcc
	v_cmp_ne_u32_e32 vcc, 0, v7
	v_cndmask_b32_e64 v7, v13, v11, s[0:1]
	v_cndmask_b32_e32 v89, v9, v10, vcc
	v_cndmask_b32_e32 v88, v4, v7, vcc
.LBB0_4:                                ;   in Loop: Header=BB0_2 Depth=1
	s_andn2_saveexec_b64 s[0:1], s[26:27]
	s_cbranch_execz .LBB0_6
; %bb.5:                                ;   in Loop: Header=BB0_2 Depth=1
	v_cvt_f32_u32_e32 v4, s24
	s_sub_i32 s26, 0, s24
	v_mov_b32_e32 v89, v3
	v_rcp_iflag_f32_e32 v4, v4
	v_mul_f32_e32 v4, 0x4f7ffffe, v4
	v_cvt_u32_f32_e32 v4, v4
	v_mul_lo_u32 v7, s26, v4
	v_mul_hi_u32 v7, v4, v7
	v_add_u32_e32 v4, v4, v7
	v_mul_hi_u32 v4, v5, v4
	v_mul_lo_u32 v7, v4, s24
	v_add_u32_e32 v8, 1, v4
	v_sub_u32_e32 v7, v5, v7
	v_subrev_u32_e32 v9, s24, v7
	v_cmp_le_u32_e32 vcc, s24, v7
	v_cndmask_b32_e32 v7, v7, v9, vcc
	v_cndmask_b32_e32 v4, v4, v8, vcc
	v_add_u32_e32 v8, 1, v4
	v_cmp_le_u32_e32 vcc, s24, v7
	v_cndmask_b32_e32 v88, v4, v8, vcc
.LBB0_6:                                ;   in Loop: Header=BB0_2 Depth=1
	s_or_b64 exec, exec, s[0:1]
	v_mul_lo_u32 v4, v89, s24
	v_mul_lo_u32 v9, v88, s25
	v_mad_u64_u32 v[7:8], s[0:1], v88, s24, 0
	s_load_dwordx2 s[0:1], s[6:7], 0x0
	s_load_dwordx2 s[24:25], s[2:3], 0x0
	v_add3_u32 v4, v8, v9, v4
	v_sub_co_u32_e32 v5, vcc, v5, v7
	v_subb_co_u32_e32 v4, vcc, v6, v4, vcc
	s_waitcnt lgkmcnt(0)
	v_mul_lo_u32 v6, s0, v4
	v_mul_lo_u32 v7, s1, v5
	v_mad_u64_u32 v[1:2], s[0:1], s0, v5, v[1:2]
	v_mul_lo_u32 v4, s24, v4
	v_mul_lo_u32 v8, s25, v5
	v_mad_u64_u32 v[84:85], s[0:1], s24, v5, v[84:85]
	s_add_u32 s22, s22, 1
	s_addc_u32 s23, s23, 0
	s_add_u32 s2, s2, 8
	v_add3_u32 v85, v8, v85, v4
	s_addc_u32 s3, s3, 0
	v_mov_b32_e32 v4, s14
	s_add_u32 s6, s6, 8
	v_mov_b32_e32 v5, s15
	s_addc_u32 s7, s7, 0
	v_cmp_ge_u64_e32 vcc, s[22:23], v[4:5]
	s_add_u32 s20, s20, 8
	v_add3_u32 v2, v7, v2, v6
	s_addc_u32 s21, s21, 0
	s_cbranch_vccnz .LBB0_9
; %bb.7:                                ;   in Loop: Header=BB0_2 Depth=1
	v_mov_b32_e32 v5, v88
	v_mov_b32_e32 v6, v89
	s_branch .LBB0_2
.LBB0_8:
	v_mov_b32_e32 v85, v2
	v_mov_b32_e32 v89, v6
	;; [unrolled: 1-line block ×4, first 2 shown]
.LBB0_9:
	s_load_dwordx2 s[2:3], s[4:5], 0x28
	s_lshl_b64 s[6:7], s[14:15], 3
	s_add_u32 s4, s18, s6
	s_addc_u32 s5, s19, s7
                                        ; implicit-def: $vgpr86
	s_waitcnt lgkmcnt(0)
	v_cmp_gt_u64_e64 s[0:1], s[2:3], v[88:89]
	v_cmp_le_u64_e32 vcc, s[2:3], v[88:89]
	s_and_saveexec_b64 s[2:3], vcc
	s_xor_b64 s[2:3], exec, s[2:3]
; %bb.10:
	s_mov_b32 s14, 0x4104105
	v_mul_hi_u32 v1, v0, s14
	v_mul_u32_u24_e32 v1, 63, v1
	v_sub_u32_e32 v86, v0, v1
                                        ; implicit-def: $vgpr0
                                        ; implicit-def: $vgpr1_vgpr2
; %bb.11:
	s_or_saveexec_b64 s[2:3], s[2:3]
	s_load_dwordx2 s[4:5], s[4:5], 0x0
	s_xor_b64 exec, exec, s[2:3]
	s_cbranch_execz .LBB0_15
; %bb.12:
	s_add_u32 s6, s16, s6
	s_addc_u32 s7, s17, s7
	s_load_dwordx2 s[6:7], s[6:7], 0x0
	s_mov_b32 s14, 0x4104105
	v_mul_hi_u32 v5, v0, s14
	v_lshlrev_b64 v[1:2], 4, v[1:2]
	s_waitcnt lgkmcnt(0)
	v_mul_lo_u32 v6, s7, v88
	v_mul_lo_u32 v7, s6, v89
	v_mad_u64_u32 v[3:4], s[6:7], s6, v88, 0
	v_mul_u32_u24_e32 v5, 63, v5
	v_sub_u32_e32 v86, v0, v5
	v_add3_u32 v4, v4, v7, v6
	v_lshlrev_b64 v[3:4], 4, v[3:4]
	v_mov_b32_e32 v0, s9
	v_add_co_u32_e32 v3, vcc, s8, v3
	v_addc_co_u32_e32 v0, vcc, v0, v4, vcc
	v_add_co_u32_e32 v1, vcc, v3, v1
	v_addc_co_u32_e32 v0, vcc, v0, v2, vcc
	v_lshlrev_b32_e32 v87, 4, v86
	v_add_co_u32_e32 v66, vcc, v1, v87
	v_addc_co_u32_e32 v67, vcc, 0, v0, vcc
	s_movk_i32 s6, 0x1000
	v_add_co_u32_e32 v50, vcc, s6, v66
	v_addc_co_u32_e32 v51, vcc, 0, v67, vcc
	s_movk_i32 s6, 0x2000
	;; [unrolled: 3-line block ×3, first 2 shown]
	v_add_co_u32_e32 v82, vcc, s6, v66
	v_addc_co_u32_e32 v83, vcc, 0, v67, vcc
	v_add_co_u32_e32 v90, vcc, 0x4000, v66
	global_load_dwordx4 v[2:5], v[66:67], off
	global_load_dwordx4 v[6:9], v[66:67], off offset:1008
	global_load_dwordx4 v[10:13], v[66:67], off offset:2016
	global_load_dwordx4 v[14:17], v[66:67], off offset:3024
	global_load_dwordx4 v[18:21], v[66:67], off offset:4032
	global_load_dwordx4 v[22:25], v[50:51], off offset:944
	global_load_dwordx4 v[26:29], v[50:51], off offset:1952
	global_load_dwordx4 v[30:33], v[50:51], off offset:2960
	global_load_dwordx4 v[34:37], v[50:51], off offset:3968
	global_load_dwordx4 v[38:41], v[68:69], off offset:880
	global_load_dwordx4 v[42:45], v[68:69], off offset:1888
	global_load_dwordx4 v[46:49], v[68:69], off offset:2896
	s_nop 0
	global_load_dwordx4 v[50:53], v[68:69], off offset:3904
	global_load_dwordx4 v[54:57], v[82:83], off offset:816
	;; [unrolled: 1-line block ×4, first 2 shown]
	v_addc_co_u32_e32 v91, vcc, 0, v67, vcc
	global_load_dwordx4 v[66:69], v[82:83], off offset:3840
	global_load_dwordx4 v[70:73], v[90:91], off offset:752
	;; [unrolled: 1-line block ×4, first 2 shown]
	v_add_u32_e32 v82, 0, v87
	v_cmp_eq_u32_e32 vcc, 62, v86
	s_waitcnt vmcnt(19)
	ds_write_b128 v82, v[2:5]
	s_waitcnt vmcnt(18)
	ds_write_b128 v82, v[6:9] offset:1008
	s_waitcnt vmcnt(17)
	ds_write_b128 v82, v[10:13] offset:2016
	;; [unrolled: 2-line block ×19, first 2 shown]
	s_and_saveexec_b64 s[6:7], vcc
	s_cbranch_execz .LBB0_14
; %bb.13:
	v_add_co_u32_e32 v1, vcc, 0x4000, v1
	v_addc_co_u32_e32 v2, vcc, 0, v0, vcc
	global_load_dwordx4 v[0:3], v[1:2], off offset:3776
	v_mov_b32_e32 v4, 0
	v_mov_b32_e32 v86, 62
	s_waitcnt vmcnt(0)
	ds_write_b128 v4, v[0:3] offset:20160
.LBB0_14:
	s_or_b64 exec, exec, s[6:7]
.LBB0_15:
	s_or_b64 exec, exec, s[2:3]
	v_lshlrev_b32_e32 v0, 4, v86
	v_add_u32_e32 v90, 0, v0
	s_waitcnt lgkmcnt(0)
	; wave barrier
	s_waitcnt lgkmcnt(0)
	v_sub_u32_e32 v10, 0, v0
	ds_read_b64 v[6:7], v90
	ds_read_b64 v[8:9], v10 offset:20160
	s_add_u32 s6, s12, 0x4ea0
	s_addc_u32 s7, s13, 0
	v_cmp_ne_u32_e32 vcc, 0, v86
                                        ; implicit-def: $vgpr4_vgpr5
	s_waitcnt lgkmcnt(0)
	v_add_f64 v[0:1], v[6:7], v[8:9]
	v_add_f64 v[2:3], v[6:7], -v[8:9]
	s_and_saveexec_b64 s[2:3], vcc
	s_xor_b64 s[2:3], exec, s[2:3]
	s_cbranch_execz .LBB0_17
; %bb.16:
	v_mov_b32_e32 v87, 0
	v_lshlrev_b64 v[0:1], 4, v[86:87]
	v_mov_b32_e32 v2, s7
	v_add_co_u32_e32 v0, vcc, s6, v0
	v_addc_co_u32_e32 v1, vcc, v2, v1, vcc
	global_load_dwordx4 v[2:5], v[0:1], off
	ds_read_b64 v[0:1], v10 offset:20168
	ds_read_b64 v[11:12], v90 offset:8
	v_add_f64 v[13:14], v[6:7], v[8:9]
	v_add_f64 v[8:9], v[6:7], -v[8:9]
	s_waitcnt lgkmcnt(0)
	v_add_f64 v[15:16], v[0:1], v[11:12]
	v_add_f64 v[0:1], v[11:12], -v[0:1]
	s_waitcnt vmcnt(0)
	v_fma_f64 v[6:7], -v[8:9], v[4:5], v[13:14]
	v_fma_f64 v[11:12], v[15:16], v[4:5], -v[0:1]
	v_fma_f64 v[13:14], v[8:9], v[4:5], v[13:14]
	v_fma_f64 v[17:18], v[15:16], v[4:5], v[0:1]
	;; [unrolled: 1-line block ×4, first 2 shown]
	v_fma_f64 v[0:1], -v[15:16], v[2:3], v[13:14]
	v_fma_f64 v[2:3], v[8:9], v[2:3], v[17:18]
	ds_write_b128 v10, v[4:7] offset:20160
	v_mov_b32_e32 v4, v86
	v_mov_b32_e32 v5, v87
.LBB0_17:
	s_andn2_saveexec_b64 s[2:3], s[2:3]
	s_cbranch_execz .LBB0_19
; %bb.18:
	v_mov_b32_e32 v8, 0
	ds_read_b128 v[4:7], v8 offset:10080
	s_waitcnt lgkmcnt(0)
	v_add_f64 v[11:12], v[4:5], v[4:5]
	v_mul_f64 v[13:14], v[6:7], -2.0
	v_mov_b32_e32 v4, 0
	v_mov_b32_e32 v5, 0
	ds_write_b128 v8, v[11:14] offset:10080
.LBB0_19:
	s_or_b64 exec, exec, s[2:3]
	v_lshlrev_b64 v[4:5], 4, v[4:5]
	v_mov_b32_e32 v6, s7
	v_add_co_u32_e32 v4, vcc, s6, v4
	v_addc_co_u32_e32 v5, vcc, v6, v5, vcc
	global_load_dwordx4 v[6:9], v[4:5], off offset:1008
	global_load_dwordx4 v[11:14], v[4:5], off offset:2016
	ds_write_b128 v90, v[0:3]
	ds_read_b128 v[0:3], v90 offset:1008
	ds_read_b128 v[15:18], v10 offset:19152
	global_load_dwordx4 v[19:22], v[4:5], off offset:3024
	s_movk_i32 s2, 0x1000
	v_add_u32_e32 v92, 63, v86
	v_lshl_add_u32 v81, v92, 5, 0
	s_waitcnt lgkmcnt(0)
	v_add_f64 v[23:24], v[0:1], v[15:16]
	v_add_f64 v[25:26], v[17:18], v[2:3]
	v_add_f64 v[27:28], v[0:1], -v[15:16]
	v_add_f64 v[0:1], v[2:3], -v[17:18]
	v_add_u32_e32 v87, 0x7e, v86
	v_add_u32_e32 v91, 0xbd, v86
	;; [unrolled: 1-line block ×5, first 2 shown]
	v_lshl_add_u32 v82, v87, 5, 0
	v_lshl_add_u32 v83, v91, 5, 0
	;; [unrolled: 1-line block ×5, first 2 shown]
	v_and_b32_e32 v107, 1, v94
	v_and_b32_e32 v106, 1, v91
	v_lshlrev_b32_e32 v109, 4, v106
	s_movk_i32 s3, 0xfc
	s_movk_i32 s6, 0x1fc
	;; [unrolled: 1-line block ×6, first 2 shown]
	s_waitcnt vmcnt(2)
	v_fma_f64 v[2:3], v[27:28], v[8:9], v[23:24]
	v_fma_f64 v[15:16], v[25:26], v[8:9], v[0:1]
	v_fma_f64 v[17:18], -v[27:28], v[8:9], v[23:24]
	v_fma_f64 v[8:9], v[25:26], v[8:9], -v[0:1]
	v_fma_f64 v[0:1], -v[25:26], v[6:7], v[2:3]
	v_fma_f64 v[2:3], v[27:28], v[6:7], v[15:16]
	v_fma_f64 v[15:16], v[25:26], v[6:7], v[17:18]
	;; [unrolled: 1-line block ×3, first 2 shown]
	ds_write_b128 v90, v[0:3] offset:1008
	ds_write_b128 v10, v[15:18] offset:19152
	ds_read_b128 v[0:3], v90 offset:2016
	ds_read_b128 v[6:9], v10 offset:18144
	global_load_dwordx4 v[15:18], v[4:5], off offset:4032
	s_waitcnt lgkmcnt(0)
	v_add_f64 v[23:24], v[0:1], v[6:7]
	v_add_f64 v[25:26], v[8:9], v[2:3]
	v_add_f64 v[27:28], v[0:1], -v[6:7]
	v_add_f64 v[0:1], v[2:3], -v[8:9]
	s_waitcnt vmcnt(2)
	v_fma_f64 v[2:3], v[27:28], v[13:14], v[23:24]
	v_fma_f64 v[6:7], v[25:26], v[13:14], v[0:1]
	v_fma_f64 v[8:9], -v[27:28], v[13:14], v[23:24]
	v_fma_f64 v[13:14], v[25:26], v[13:14], -v[0:1]
	v_add_co_u32_e32 v23, vcc, s2, v4
	v_addc_co_u32_e32 v24, vcc, 0, v5, vcc
	v_fma_f64 v[0:1], -v[25:26], v[11:12], v[2:3]
	v_fma_f64 v[2:3], v[27:28], v[11:12], v[6:7]
	v_fma_f64 v[6:7], v[25:26], v[11:12], v[8:9]
	;; [unrolled: 1-line block ×3, first 2 shown]
	ds_write_b128 v90, v[0:3] offset:2016
	ds_write_b128 v10, v[6:9] offset:18144
	ds_read_b128 v[0:3], v90 offset:3024
	ds_read_b128 v[6:9], v10 offset:17136
	global_load_dwordx4 v[11:14], v[23:24], off offset:944
	s_movk_i32 s2, 0x2000
	s_waitcnt lgkmcnt(0)
	v_add_f64 v[25:26], v[0:1], v[6:7]
	v_add_f64 v[27:28], v[8:9], v[2:3]
	v_add_f64 v[29:30], v[0:1], -v[6:7]
	v_add_f64 v[0:1], v[2:3], -v[8:9]
	s_waitcnt vmcnt(2)
	v_fma_f64 v[2:3], v[29:30], v[21:22], v[25:26]
	v_fma_f64 v[6:7], v[27:28], v[21:22], v[0:1]
	v_fma_f64 v[8:9], -v[29:30], v[21:22], v[25:26]
	v_fma_f64 v[21:22], v[27:28], v[21:22], -v[0:1]
	v_fma_f64 v[0:1], -v[27:28], v[19:20], v[2:3]
	v_fma_f64 v[2:3], v[29:30], v[19:20], v[6:7]
	v_fma_f64 v[6:7], v[27:28], v[19:20], v[8:9]
	v_fma_f64 v[8:9], v[29:30], v[19:20], v[21:22]
	ds_write_b128 v90, v[0:3] offset:3024
	ds_write_b128 v10, v[6:9] offset:17136
	ds_read_b128 v[0:3], v90 offset:4032
	ds_read_b128 v[6:9], v10 offset:16128
	global_load_dwordx4 v[19:22], v[23:24], off offset:1952
	s_waitcnt lgkmcnt(0)
	v_add_f64 v[25:26], v[0:1], v[6:7]
	v_add_f64 v[27:28], v[8:9], v[2:3]
	v_add_f64 v[29:30], v[0:1], -v[6:7]
	v_add_f64 v[0:1], v[2:3], -v[8:9]
	s_waitcnt vmcnt(2)
	v_fma_f64 v[2:3], v[29:30], v[17:18], v[25:26]
	v_fma_f64 v[6:7], v[27:28], v[17:18], v[0:1]
	v_fma_f64 v[8:9], -v[29:30], v[17:18], v[25:26]
	v_fma_f64 v[17:18], v[27:28], v[17:18], -v[0:1]
	v_fma_f64 v[0:1], -v[27:28], v[15:16], v[2:3]
	v_fma_f64 v[2:3], v[29:30], v[15:16], v[6:7]
	v_fma_f64 v[6:7], v[27:28], v[15:16], v[8:9]
	v_fma_f64 v[8:9], v[29:30], v[15:16], v[17:18]
	ds_write_b128 v90, v[0:3] offset:4032
	ds_write_b128 v10, v[6:9] offset:16128
	ds_read_b128 v[0:3], v90 offset:5040
	ds_read_b128 v[6:9], v10 offset:15120
	global_load_dwordx4 v[15:18], v[23:24], off offset:2960
	;; [unrolled: 19-line block ×3, first 2 shown]
	s_waitcnt lgkmcnt(0)
	v_add_f64 v[23:24], v[0:1], v[6:7]
	v_add_f64 v[25:26], v[8:9], v[2:3]
	v_add_f64 v[27:28], v[0:1], -v[6:7]
	v_add_f64 v[0:1], v[2:3], -v[8:9]
	s_waitcnt vmcnt(2)
	v_fma_f64 v[2:3], v[27:28], v[21:22], v[23:24]
	v_fma_f64 v[6:7], v[25:26], v[21:22], v[0:1]
	v_fma_f64 v[8:9], -v[27:28], v[21:22], v[23:24]
	v_fma_f64 v[21:22], v[25:26], v[21:22], -v[0:1]
	v_fma_f64 v[0:1], -v[25:26], v[19:20], v[2:3]
	v_fma_f64 v[2:3], v[27:28], v[19:20], v[6:7]
	v_fma_f64 v[6:7], v[25:26], v[19:20], v[8:9]
	;; [unrolled: 1-line block ×3, first 2 shown]
	ds_write_b128 v90, v[0:3] offset:6048
	ds_write_b128 v10, v[6:9] offset:14112
	v_add_co_u32_e32 v0, vcc, s2, v4
	v_addc_co_u32_e32 v1, vcc, 0, v5, vcc
	ds_read_b128 v[6:9], v90 offset:7056
	ds_read_b128 v[19:22], v10 offset:13104
	global_load_dwordx4 v[0:3], v[0:1], off offset:880
	s_movk_i32 s2, 0x7c
	v_cmp_gt_u32_e32 vcc, 42, v86
	s_waitcnt lgkmcnt(0)
	v_add_f64 v[4:5], v[6:7], v[19:20]
	v_add_f64 v[23:24], v[21:22], v[8:9]
	v_add_f64 v[19:20], v[6:7], -v[19:20]
	v_add_f64 v[6:7], v[8:9], -v[21:22]
	s_waitcnt vmcnt(2)
	v_fma_f64 v[8:9], v[19:20], v[17:18], v[4:5]
	v_fma_f64 v[21:22], v[23:24], v[17:18], v[6:7]
	v_fma_f64 v[25:26], -v[19:20], v[17:18], v[4:5]
	v_fma_f64 v[27:28], v[23:24], v[17:18], -v[6:7]
	v_fma_f64 v[4:5], -v[23:24], v[15:16], v[8:9]
	v_fma_f64 v[6:7], v[19:20], v[15:16], v[21:22]
	v_fma_f64 v[17:18], v[23:24], v[15:16], v[25:26]
	;; [unrolled: 1-line block ×3, first 2 shown]
	ds_write_b128 v90, v[4:7] offset:7056
	ds_write_b128 v10, v[17:20] offset:13104
	ds_read_b128 v[4:7], v90 offset:8064
	ds_read_b128 v[15:18], v10 offset:12096
	s_waitcnt lgkmcnt(0)
	v_add_f64 v[8:9], v[4:5], v[15:16]
	v_add_f64 v[19:20], v[17:18], v[6:7]
	v_add_f64 v[4:5], v[4:5], -v[15:16]
	v_add_f64 v[6:7], v[6:7], -v[17:18]
	s_waitcnt vmcnt(1)
	v_fma_f64 v[15:16], v[4:5], v[13:14], v[8:9]
	v_fma_f64 v[17:18], v[19:20], v[13:14], v[6:7]
	v_fma_f64 v[8:9], -v[4:5], v[13:14], v[8:9]
	v_fma_f64 v[6:7], v[19:20], v[13:14], -v[6:7]
	v_fma_f64 v[13:14], -v[19:20], v[11:12], v[15:16]
	v_fma_f64 v[15:16], v[4:5], v[11:12], v[17:18]
	v_fma_f64 v[17:18], v[19:20], v[11:12], v[8:9]
	;; [unrolled: 1-line block ×3, first 2 shown]
	ds_write_b128 v90, v[13:16] offset:8064
	ds_write_b128 v10, v[17:20] offset:12096
	ds_read_b128 v[11:14], v90 offset:9072
	ds_read_b128 v[15:18], v10 offset:11088
	v_lshl_add_u32 v7, v86, 4, v90
	v_add_u32_e32 v4, 0x1b9, v86
	v_add_u32_e32 v6, 0x1f8, v86
	;; [unrolled: 1-line block ×3, first 2 shown]
	s_waitcnt lgkmcnt(0)
	v_add_f64 v[19:20], v[11:12], v[15:16]
	v_add_f64 v[21:22], v[17:18], v[13:14]
	v_add_f64 v[23:24], v[11:12], -v[15:16]
	v_add_f64 v[11:12], v[13:14], -v[17:18]
	v_lshl_add_u32 v103, v4, 5, 0
	v_lshl_add_u32 v104, v6, 5, 0
	;; [unrolled: 1-line block ×3, first 2 shown]
	v_and_b32_e32 v108, 1, v4
	v_and_b32_e32 v8, 1, v86
	v_lshlrev_b32_e32 v4, 1, v4
	s_waitcnt vmcnt(0)
	v_fma_f64 v[13:14], v[23:24], v[2:3], v[19:20]
	v_fma_f64 v[15:16], v[21:22], v[2:3], v[11:12]
	v_fma_f64 v[17:18], -v[23:24], v[2:3], v[19:20]
	v_fma_f64 v[2:3], v[21:22], v[2:3], -v[11:12]
	v_lshlrev_b32_e32 v6, 1, v6
	v_and_or_b32 v4, v4, s7, v108
	v_and_or_b32 v6, v6, s9, v8
	v_lshl_add_u32 v152, v4, 4, 0
	v_fma_f64 v[11:12], -v[21:22], v[0:1], v[13:14]
	v_fma_f64 v[13:14], v[23:24], v[0:1], v[15:16]
	v_fma_f64 v[15:16], v[21:22], v[0:1], v[17:18]
	;; [unrolled: 1-line block ×3, first 2 shown]
	ds_write_b128 v90, v[11:14] offset:9072
	ds_write_b128 v10, v[15:18] offset:11088
	s_waitcnt lgkmcnt(0)
	; wave barrier
	s_waitcnt lgkmcnt(0)
	s_waitcnt lgkmcnt(0)
	; wave barrier
	s_waitcnt lgkmcnt(0)
	ds_read_b128 v[0:3], v90
	ds_read_b128 v[9:12], v90 offset:1008
	ds_read_b128 v[13:16], v90 offset:10080
	;; [unrolled: 1-line block ×19, first 2 shown]
	s_waitcnt lgkmcnt(14)
	v_add_f64 v[13:14], v[0:1], -v[13:14]
	v_add_f64 v[15:16], v[2:3], -v[15:16]
	;; [unrolled: 1-line block ×4, first 2 shown]
	s_waitcnt lgkmcnt(13)
	v_add_f64 v[29:30], v[21:22], -v[29:30]
	v_add_f64 v[31:32], v[23:24], -v[31:32]
	s_waitcnt lgkmcnt(12)
	v_add_f64 v[33:34], v[25:26], -v[33:34]
	v_add_f64 v[35:36], v[27:28], -v[35:36]
	;; [unrolled: 3-line block ×8, first 2 shown]
	v_fma_f64 v[0:1], v[0:1], 2.0, -v[13:14]
	v_fma_f64 v[2:3], v[2:3], 2.0, -v[15:16]
	;; [unrolled: 1-line block ×4, first 2 shown]
	s_waitcnt lgkmcnt(0)
	; wave barrier
	ds_write_b128 v7, v[13:16] offset:16
	v_fma_f64 v[13:14], v[21:22], 2.0, -v[29:30]
	v_fma_f64 v[15:16], v[23:24], 2.0, -v[31:32]
	ds_write_b128 v81, v[17:20] offset:16
	v_fma_f64 v[17:18], v[25:26], 2.0, -v[33:34]
	v_fma_f64 v[19:20], v[27:28], 2.0, -v[35:36]
	;; [unrolled: 1-line block ×6, first 2 shown]
	ds_write_b128 v82, v[29:32] offset:16
	ds_write_b128 v83, v[33:36] offset:16
	;; [unrolled: 1-line block ×4, first 2 shown]
	v_fma_f64 v[29:30], v[53:54], 2.0, -v[61:62]
	v_fma_f64 v[31:32], v[55:56], 2.0, -v[63:64]
	ds_write_b128 v102, v[61:64] offset:16
	v_fma_f64 v[33:34], v[57:58], 2.0, -v[65:66]
	v_fma_f64 v[35:36], v[59:60], 2.0, -v[67:68]
	ds_write_b128 v103, v[65:68] offset:16
	v_fma_f64 v[37:38], v[69:70], 2.0, -v[77:78]
	v_fma_f64 v[39:40], v[71:72], 2.0, -v[79:80]
	;; [unrolled: 1-line block ×4, first 2 shown]
	ds_write_b128 v104, v[77:80] offset:16
	ds_write_b128 v105, v[96:99] offset:16
	ds_write_b128 v7, v[0:3]
	ds_write_b128 v81, v[9:12]
	;; [unrolled: 1-line block ×10, first 2 shown]
	v_and_b32_e32 v25, 1, v92
	v_lshlrev_b32_e32 v7, 4, v107
	v_lshlrev_b32_e32 v26, 4, v25
	s_waitcnt lgkmcnt(0)
	; wave barrier
	s_waitcnt lgkmcnt(0)
	global_load_dwordx4 v[9:12], v7, s[12:13]
	global_load_dwordx2 v[116:117], v26, s[12:13]
	v_lshlrev_b32_e32 v7, 4, v108
	global_load_dwordx4 v[0:3], v109, s[12:13]
	global_load_dwordx4 v[13:16], v7, s[12:13]
	v_lshlrev_b32_e32 v7, 4, v8
	global_load_dwordx4 v[17:20], v7, s[12:13]
	v_and_b32_e32 v7, 1, v5
	v_lshlrev_b32_e32 v21, 4, v7
	global_load_dwordx2 v[81:82], v21, s[12:13] offset:8
	v_lshlrev_b32_e32 v26, 1, v86
	global_load_dwordx4 v[21:24], v21, s[12:13]
	v_and_or_b32 v26, v26, s2, v8
	v_lshlrev_b32_e32 v27, 1, v92
	v_lshlrev_b32_e32 v28, 1, v87
	;; [unrolled: 1-line block ×7, first 2 shown]
	v_lshl_add_u32 v83, v26, 4, 0
	v_and_or_b32 v25, v27, s3, v25
	v_and_or_b32 v26, v28, s6, v8
	;; [unrolled: 1-line block ×7, first 2 shown]
	v_lshl_add_u32 v146, v25, 4, 0
	v_lshl_add_u32 v147, v26, 4, 0
	v_lshl_add_u32 v148, v27, 4, 0
	v_lshl_add_u32 v149, v28, 4, 0
	v_lshl_add_u32 v150, v29, 4, 0
	v_lshl_add_u32 v151, v30, 4, 0
	v_lshl_add_u32 v153, v6, 4, 0
	v_lshl_add_u32 v154, v5, 4, 0
	ds_read_b128 v[4:7], v90 offset:10080
	ds_read_b128 v[25:28], v90 offset:11088
	;; [unrolled: 1-line block ×10, first 2 shown]
	ds_read_b128 v[61:64], v90
	ds_read_b128 v[65:68], v90 offset:1008
	ds_read_b128 v[69:72], v90 offset:2016
	;; [unrolled: 1-line block ×9, first 2 shown]
	s_waitcnt lgkmcnt(0)
	; wave barrier
	s_waitcnt vmcnt(6) lgkmcnt(0)
	v_mul_f64 v[120:121], v[39:40], v[11:12]
	v_mul_f64 v[11:12], v[37:38], v[11:12]
	s_waitcnt vmcnt(4)
	v_mul_f64 v[118:119], v[31:32], v[2:3]
	v_mul_f64 v[2:3], v[29:30], v[2:3]
	s_waitcnt vmcnt(3)
	v_mul_f64 v[122:123], v[47:48], v[15:16]
	s_waitcnt vmcnt(2)
	v_mul_f64 v[124:125], v[6:7], v[19:20]
	v_mul_f64 v[126:127], v[4:5], v[19:20]
	;; [unrolled: 1-line block ×5, first 2 shown]
	s_waitcnt vmcnt(0)
	v_mul_f64 v[144:145], v[27:28], v[23:24]
	v_mul_f64 v[23:24], v[25:26], v[23:24]
	;; [unrolled: 1-line block ×10, first 2 shown]
	v_fma_f64 v[29:30], v[29:30], v[0:1], v[118:119]
	v_fma_f64 v[31:32], v[31:32], v[0:1], -v[2:3]
	v_fma_f64 v[0:1], v[4:5], v[17:18], v[124:125]
	v_fma_f64 v[2:3], v[6:7], v[17:18], -v[126:127]
	;; [unrolled: 2-line block ×10, first 2 shown]
	v_add_f64 v[0:1], v[61:62], -v[0:1]
	v_add_f64 v[2:3], v[63:64], -v[2:3]
	v_add_f64 v[4:5], v[65:66], -v[4:5]
	v_add_f64 v[6:7], v[67:68], -v[6:7]
	v_add_f64 v[8:9], v[69:70], -v[8:9]
	v_add_f64 v[10:11], v[71:72], -v[10:11]
	v_add_f64 v[12:13], v[73:74], -v[29:30]
	v_add_f64 v[14:15], v[75:76], -v[31:32]
	v_add_f64 v[16:17], v[77:78], -v[33:34]
	v_add_f64 v[18:19], v[79:80], -v[35:36]
	v_add_f64 v[20:21], v[96:97], -v[37:38]
	v_add_f64 v[22:23], v[98:99], -v[39:40]
	v_add_f64 v[24:25], v[100:101], -v[41:42]
	v_add_f64 v[26:27], v[102:103], -v[43:44]
	v_add_f64 v[32:33], v[104:105], -v[45:46]
	v_add_f64 v[34:35], v[106:107], -v[47:48]
	v_add_f64 v[36:37], v[108:109], -v[49:50]
	v_add_f64 v[38:39], v[110:111], -v[51:52]
	v_add_f64 v[28:29], v[112:113], -v[53:54]
	v_add_f64 v[30:31], v[114:115], -v[55:56]
	v_fma_f64 v[40:41], v[61:62], 2.0, -v[0:1]
	v_fma_f64 v[42:43], v[63:64], 2.0, -v[2:3]
	;; [unrolled: 1-line block ×18, first 2 shown]
	ds_write_b128 v83, v[0:3] offset:32
	v_fma_f64 v[0:1], v[112:113], 2.0, -v[28:29]
	v_fma_f64 v[2:3], v[114:115], 2.0, -v[30:31]
	ds_write_b128 v83, v[40:43]
	ds_write_b128 v146, v[44:47]
	ds_write_b128 v146, v[4:7] offset:32
	ds_write_b128 v147, v[48:51]
	ds_write_b128 v147, v[8:11] offset:32
	;; [unrolled: 2-line block ×9, first 2 shown]
	s_waitcnt lgkmcnt(0)
	; wave barrier
	s_waitcnt lgkmcnt(0)
	ds_read_b128 v[24:27], v90
	ds_read_b128 v[20:23], v90 offset:1008
	ds_read_b128 v[52:55], v90 offset:6720
	;; [unrolled: 1-line block ×17, first 2 shown]
                                        ; implicit-def: $vgpr82_vgpr83
	s_and_saveexec_b64 s[2:3], vcc
	s_cbranch_execz .LBB0_21
; %bb.20:
	ds_read_b128 v[0:3], v90 offset:6048
	ds_read_b128 v[28:31], v90 offset:12768
	;; [unrolled: 1-line block ×3, first 2 shown]
.LBB0_21:
	s_or_b64 exec, exec, s[2:3]
	v_and_b32_e32 v97, 3, v91
	v_lshlrev_b32_e32 v98, 5, v97
	v_and_b32_e32 v96, 3, v86
	global_load_dwordx4 v[100:103], v98, s[12:13] offset:32
	global_load_dwordx4 v[104:107], v98, s[12:13] offset:48
	v_lshlrev_b32_e32 v98, 5, v96
	global_load_dwordx4 v[108:111], v98, s[12:13] offset:32
	global_load_dwordx4 v[112:115], v98, s[12:13] offset:48
	v_and_b32_e32 v98, 3, v94
	v_lshlrev_b32_e32 v124, 5, v98
	global_load_dwordx2 v[140:141], v124, s[12:13] offset:56
	global_load_dwordx4 v[116:119], v124, s[12:13] offset:48
	global_load_dwordx4 v[120:123], v124, s[12:13] offset:40
	v_and_b32_e32 v99, 3, v95
	global_load_dwordx4 v[124:127], v124, s[12:13] offset:32
	v_and_b32_e32 v180, 3, v92
	v_lshlrev_b32_e32 v142, 5, v99
	v_lshlrev_b32_e32 v144, 5, v180
	global_load_dwordx4 v[128:131], v142, s[12:13] offset:32
	global_load_dwordx4 v[132:135], v142, s[12:13] offset:48
	;; [unrolled: 1-line block ×3, first 2 shown]
	s_nop 0
	global_load_dwordx2 v[142:143], v142, s[12:13] offset:56
	v_and_b32_e32 v181, 3, v87
	global_load_dwordx2 v[144:145], v144, s[12:13] offset:32
	v_lshlrev_b32_e32 v146, 5, v181
	global_load_dwordx2 v[146:147], v146, s[12:13] offset:32
	s_mov_b32 s2, 0xe8584caa
	s_mov_b32 s3, 0xbfebb67a
	;; [unrolled: 1-line block ×4, first 2 shown]
	s_waitcnt lgkmcnt(0)
	; wave barrier
	s_waitcnt vmcnt(13) lgkmcnt(0)
	v_mul_f64 v[148:149], v[74:75], v[102:103]
	s_waitcnt vmcnt(12)
	v_mul_f64 v[150:151], v[78:79], v[106:107]
	s_waitcnt vmcnt(11)
	;; [unrolled: 2-line block ×3, first 2 shown]
	v_mul_f64 v[160:161], v[48:49], v[114:115]
	v_mul_f64 v[106:107], v[76:77], v[106:107]
	s_waitcnt vmcnt(8)
	v_mul_f64 v[166:167], v[46:47], v[118:119]
	v_mul_f64 v[152:153], v[54:55], v[110:111]
	;; [unrolled: 1-line block ×3, first 2 shown]
	s_waitcnt vmcnt(6)
	v_mul_f64 v[170:171], v[34:35], v[126:127]
	v_mul_f64 v[110:111], v[68:69], v[110:111]
	v_mul_f64 v[158:159], v[50:51], v[114:115]
	v_mul_f64 v[164:165], v[62:63], v[140:141]
	v_mul_f64 v[118:119], v[44:45], v[118:119]
	v_mul_f64 v[168:169], v[58:59], v[120:121]
	v_mul_f64 v[120:121], v[56:57], v[120:121]
	v_mul_f64 v[126:127], v[32:33], v[126:127]
	s_waitcnt vmcnt(5)
	v_mul_f64 v[172:173], v[38:39], v[130:131]
	v_mul_f64 v[130:131], v[36:37], v[130:131]
	s_waitcnt vmcnt(4)
	v_mul_f64 v[174:175], v[42:43], v[134:135]
	v_fma_f64 v[54:55], v[54:55], v[108:109], -v[154:155]
	v_fma_f64 v[50:51], v[50:51], v[112:113], -v[160:161]
	v_fma_f64 v[44:45], v[44:45], v[122:123], v[166:167]
	s_waitcnt vmcnt(1)
	v_fma_f64 v[32:33], v[32:33], v[144:145], v[170:171]
	v_mul_f64 v[102:103], v[72:73], v[102:103]
	v_mul_f64 v[162:163], v[66:67], v[114:115]
	;; [unrolled: 1-line block ×7, first 2 shown]
	v_fma_f64 v[76:77], v[76:77], v[104:105], v[150:151]
	v_fma_f64 v[78:79], v[78:79], v[104:105], -v[106:107]
	v_fma_f64 v[52:53], v[52:53], v[108:109], v[152:153]
	v_fma_f64 v[68:69], v[68:69], v[108:109], v[156:157]
	v_fma_f64 v[70:71], v[70:71], v[108:109], -v[110:111]
	v_fma_f64 v[48:49], v[48:49], v[112:113], v[158:159]
	;; [unrolled: 3-line block ×3, first 2 shown]
	v_fma_f64 v[110:111], v[58:59], v[124:125], -v[120:121]
	v_fma_f64 v[34:35], v[34:35], v[144:145], -v[126:127]
	s_waitcnt vmcnt(0)
	v_fma_f64 v[56:57], v[36:37], v[146:147], v[172:173]
	v_fma_f64 v[58:59], v[38:39], v[146:147], -v[130:131]
	v_fma_f64 v[60:61], v[40:41], v[138:139], v[174:175]
	v_add_f64 v[36:37], v[54:55], -v[50:51]
	v_add_f64 v[38:39], v[26:27], v[54:55]
	v_add_f64 v[40:41], v[54:55], v[50:51]
	;; [unrolled: 1-line block ×3, first 2 shown]
	v_mul_f64 v[178:179], v[82:83], v[142:143]
	v_mul_f64 v[142:143], v[80:81], v[142:143]
	v_fma_f64 v[72:73], v[72:73], v[100:101], v[148:149]
	v_fma_f64 v[74:75], v[74:75], v[100:101], -v[102:103]
	v_fma_f64 v[100:101], v[64:65], v[112:113], v[162:163]
	v_fma_f64 v[102:103], v[66:67], v[112:113], -v[114:115]
	v_fma_f64 v[106:107], v[62:63], v[116:117], -v[140:141]
	;; [unrolled: 1-line block ×3, first 2 shown]
	v_fma_f64 v[112:113], v[28:29], v[128:129], v[176:177]
	v_fma_f64 v[114:115], v[30:31], v[128:129], -v[136:137]
	v_add_f64 v[28:29], v[24:25], v[52:53]
	v_add_f64 v[30:31], v[52:53], v[48:49]
	v_add_f64 v[42:43], v[52:53], -v[48:49]
	v_add_f64 v[52:53], v[20:21], v[32:33]
	v_add_f64 v[64:65], v[34:35], -v[46:47]
	v_add_f64 v[66:67], v[22:23], v[34:35]
	v_add_f64 v[34:35], v[34:35], v[46:47]
	;; [unrolled: 1-line block ×3, first 2 shown]
	v_fma_f64 v[40:41], v[40:41], -0.5, v[26:27]
	v_fma_f64 v[20:21], v[54:55], -0.5, v[20:21]
	v_fma_f64 v[116:117], v[80:81], v[132:133], v[178:179]
	v_fma_f64 v[118:119], v[82:83], v[132:133], -v[142:143]
	v_add_f64 v[80:81], v[32:33], -v[44:45]
	v_add_f64 v[82:83], v[16:17], v[56:57]
	v_add_f64 v[122:123], v[58:59], v[62:63]
	v_fma_f64 v[124:125], v[30:31], -0.5, v[24:25]
	v_add_f64 v[24:25], v[28:29], v[48:49]
	v_add_f64 v[26:27], v[38:39], v[50:51]
	;; [unrolled: 1-line block ×3, first 2 shown]
	v_fma_f64 v[22:23], v[34:35], -0.5, v[22:23]
	v_fma_f64 v[34:35], v[42:43], s[6:7], v[40:41]
	v_fma_f64 v[38:39], v[42:43], s[2:3], v[40:41]
	;; [unrolled: 1-line block ×4, first 2 shown]
	v_fma_f64 v[16:17], v[120:121], -0.5, v[16:17]
	v_add_f64 v[20:21], v[58:59], -v[62:63]
	v_add_f64 v[30:31], v[66:67], v[46:47]
	v_fma_f64 v[42:43], v[80:81], s[6:7], v[22:23]
	v_fma_f64 v[46:47], v[80:81], s[2:3], v[22:23]
	v_add_f64 v[22:23], v[18:19], v[58:59]
	v_add_f64 v[54:55], v[72:73], v[76:77]
	v_fma_f64 v[18:19], v[122:123], -0.5, v[18:19]
	v_add_f64 v[58:59], v[56:57], -v[60:61]
	v_fma_f64 v[52:53], v[20:21], s[2:3], v[16:17]
	v_fma_f64 v[56:57], v[20:21], s[6:7], v[16:17]
	v_add_f64 v[16:17], v[12:13], v[72:73]
	v_add_f64 v[20:21], v[74:75], v[78:79]
	;; [unrolled: 1-line block ×3, first 2 shown]
	v_fma_f64 v[22:23], v[54:55], -0.5, v[12:13]
	v_add_f64 v[62:63], v[74:75], -v[78:79]
	v_fma_f64 v[54:55], v[58:59], s[6:7], v[18:19]
	v_add_f64 v[66:67], v[14:15], v[74:75]
	v_fma_f64 v[58:59], v[58:59], s[2:3], v[18:19]
	v_add_f64 v[12:13], v[16:17], v[76:77]
	v_add_f64 v[16:17], v[68:69], v[100:101]
	v_fma_f64 v[18:19], v[20:21], -0.5, v[14:15]
	v_add_f64 v[20:21], v[72:73], -v[76:77]
	v_add_f64 v[48:49], v[82:83], v[60:61]
	v_fma_f64 v[60:61], v[62:63], s[2:3], v[22:23]
	v_fma_f64 v[64:65], v[62:63], s[6:7], v[22:23]
	v_add_f64 v[14:15], v[66:67], v[78:79]
	v_add_f64 v[22:23], v[70:71], v[102:103]
	;; [unrolled: 1-line block ×3, first 2 shown]
	v_fma_f64 v[16:17], v[16:17], -0.5, v[8:9]
	v_add_f64 v[74:75], v[70:71], -v[102:103]
	v_fma_f64 v[62:63], v[20:21], s[6:7], v[18:19]
	v_fma_f64 v[66:67], v[20:21], s[2:3], v[18:19]
	v_add_f64 v[18:19], v[10:11], v[70:71]
	v_add_f64 v[76:77], v[108:109], v[104:105]
	v_fma_f64 v[20:21], v[22:23], -0.5, v[10:11]
	v_add_f64 v[22:23], v[68:69], -v[100:101]
	v_add_f64 v[8:9], v[72:73], v[100:101]
	v_fma_f64 v[68:69], v[74:75], s[2:3], v[16:17]
	v_fma_f64 v[72:73], v[74:75], s[6:7], v[16:17]
	v_add_f64 v[16:17], v[110:111], v[106:107]
	v_add_f64 v[10:11], v[18:19], v[102:103]
	;; [unrolled: 1-line block ×4, first 2 shown]
	v_fma_f64 v[4:5], v[76:77], -0.5, v[4:5]
	v_add_f64 v[82:83], v[110:111], -v[106:107]
	v_fma_f64 v[70:71], v[22:23], s[6:7], v[20:21]
	v_fma_f64 v[74:75], v[22:23], s[2:3], v[20:21]
	v_add_f64 v[20:21], v[6:7], v[110:111]
	v_fma_f64 v[6:7], v[16:17], -0.5, v[6:7]
	v_add_f64 v[16:17], v[108:109], -v[104:105]
	v_add_f64 v[22:23], v[0:1], v[112:113]
	v_fma_f64 v[0:1], v[18:19], -0.5, v[0:1]
	v_add_f64 v[18:19], v[114:115], -v[118:119]
	v_fma_f64 v[32:33], v[36:37], s[2:3], v[124:125]
	v_fma_f64 v[36:37], v[36:37], s[6:7], v[124:125]
	v_add_f64 v[76:77], v[78:79], v[104:105]
	v_fma_f64 v[80:81], v[82:83], s[2:3], v[4:5]
	v_fma_f64 v[100:101], v[82:83], s[6:7], v[4:5]
	v_add_f64 v[4:5], v[114:115], v[118:119]
	v_add_f64 v[78:79], v[20:21], v[106:107]
	v_fma_f64 v[82:83], v[16:17], s[6:7], v[6:7]
	v_fma_f64 v[102:103], v[16:17], s[2:3], v[6:7]
	;; [unrolled: 1-line block ×4, first 2 shown]
	v_lshrrev_b32_e32 v0, 2, v86
	v_mul_u32_u24_e32 v0, 12, v0
	v_or_b32_e32 v0, v0, v96
	v_lshl_add_u32 v0, v0, 4, 0
	ds_write_b128 v0, v[24:27]
	ds_write_b128 v0, v[32:35] offset:64
	ds_write_b128 v0, v[36:39] offset:128
	v_lshrrev_b32_e32 v0, 2, v92
	v_mul_u32_u24_e32 v0, 12, v0
	v_or_b32_e32 v0, v0, v180
	v_lshl_add_u32 v0, v0, 4, 0
	v_add_f64 v[104:105], v[2:3], v[114:115]
	v_fma_f64 v[2:3], v[4:5], -0.5, v[2:3]
	v_add_f64 v[108:109], v[112:113], -v[116:117]
	ds_write_b128 v0, v[28:31]
	ds_write_b128 v0, v[40:43] offset:64
	ds_write_b128 v0, v[44:47] offset:128
	v_lshrrev_b32_e32 v0, 2, v87
	v_mul_u32_u24_e32 v0, 12, v0
	v_or_b32_e32 v0, v0, v181
	v_lshl_add_u32 v0, v0, 4, 0
	ds_write_b128 v0, v[48:51]
	ds_write_b128 v0, v[52:55] offset:64
	ds_write_b128 v0, v[56:59] offset:128
	v_lshrrev_b32_e32 v0, 2, v91
	v_mul_u32_u24_e32 v0, 12, v0
	v_or_b32_e32 v0, v0, v97
	v_lshl_add_u32 v0, v0, 4, 0
	v_add_f64 v[4:5], v[22:23], v[116:117]
	v_add_f64 v[6:7], v[104:105], v[118:119]
	v_fma_f64 v[18:19], v[108:109], s[6:7], v[2:3]
	v_fma_f64 v[22:23], v[108:109], s[2:3], v[2:3]
	ds_write_b128 v0, v[12:15]
	ds_write_b128 v0, v[60:63] offset:64
	ds_write_b128 v0, v[64:67] offset:128
	v_lshrrev_b32_e32 v0, 2, v93
	v_mul_u32_u24_e32 v0, 12, v0
	v_or_b32_e32 v0, v0, v96
	v_lshl_add_u32 v0, v0, 4, 0
	ds_write_b128 v0, v[8:11]
	ds_write_b128 v0, v[68:71] offset:64
	ds_write_b128 v0, v[72:75] offset:128
	v_lshrrev_b32_e32 v0, 2, v94
	v_mul_u32_u24_e32 v0, 12, v0
	v_or_b32_e32 v0, v0, v98
	v_lshl_add_u32 v0, v0, 4, 0
	ds_write_b128 v0, v[76:79]
	ds_write_b128 v0, v[80:83] offset:64
	ds_write_b128 v0, v[100:103] offset:128
	s_and_saveexec_b64 s[2:3], vcc
	s_cbranch_execz .LBB0_23
; %bb.22:
	v_lshrrev_b32_e32 v0, 2, v95
	v_mul_u32_u24_e32 v0, 12, v0
	v_or_b32_e32 v0, v0, v99
	v_lshl_add_u32 v0, v0, 4, 0
	ds_write_b128 v0, v[4:7]
	ds_write_b128 v0, v[16:19] offset:64
	ds_write_b128 v0, v[20:23] offset:128
.LBB0_23:
	s_or_b64 exec, exec, s[2:3]
	s_waitcnt lgkmcnt(0)
	; wave barrier
	s_waitcnt lgkmcnt(0)
	ds_read_b128 v[32:35], v90
	ds_read_b128 v[28:31], v90 offset:1008
	ds_read_b128 v[80:83], v90 offset:6720
	;; [unrolled: 1-line block ×17, first 2 shown]
	s_and_saveexec_b64 s[2:3], vcc
	s_cbranch_execz .LBB0_25
; %bb.24:
	ds_read_b128 v[4:7], v90 offset:6048
	ds_read_b128 v[16:19], v90 offset:12768
	;; [unrolled: 1-line block ×3, first 2 shown]
.LBB0_25:
	s_or_b64 exec, exec, s[2:3]
	s_movk_i32 s2, 0xab
	v_mul_lo_u16_sdwa v96, v86, s2 dst_sel:DWORD dst_unused:UNUSED_PAD src0_sel:BYTE_0 src1_sel:DWORD
	v_lshrrev_b16_e32 v100, 11, v96
	v_mul_lo_u16_e32 v96, 12, v100
	v_sub_u16_e32 v101, v86, v96
	v_mov_b32_e32 v96, 5
	v_lshlrev_b32_sdwa v97, v96, v101 dst_sel:DWORD dst_unused:UNUSED_PAD src0_sel:DWORD src1_sel:BYTE_0
	global_load_dwordx4 v[108:111], v97, s[12:13] offset:176
	global_load_dwordx4 v[112:115], v97, s[12:13] offset:160
	v_mul_lo_u16_sdwa v97, v92, s2 dst_sel:DWORD dst_unused:UNUSED_PAD src0_sel:BYTE_0 src1_sel:DWORD
	v_lshrrev_b16_e32 v106, 11, v97
	v_mul_lo_u16_e32 v97, 12, v106
	v_sub_u16_e32 v107, v92, v97
	v_lshlrev_b32_sdwa v97, v96, v107 dst_sel:DWORD dst_unused:UNUSED_PAD src0_sel:DWORD src1_sel:BYTE_0
	global_load_dwordx4 v[116:119], v97, s[12:13] offset:176
	global_load_dwordx4 v[120:123], v97, s[12:13] offset:160
	v_mul_lo_u16_sdwa v97, v87, s2 dst_sel:DWORD dst_unused:UNUSED_PAD src0_sel:BYTE_0 src1_sel:DWORD
	v_lshrrev_b16_e32 v104, 11, v97
	v_mul_lo_u16_e32 v97, 12, v104
	v_sub_u16_e32 v105, v87, v97
	;; [unrolled: 7-line block ×3, first 2 shown]
	v_lshlrev_b32_sdwa v96, v96, v103 dst_sel:DWORD dst_unused:UNUSED_PAD src0_sel:DWORD src1_sel:BYTE_0
	s_mov_b32 s2, 0xaaab
	global_load_dwordx4 v[132:135], v96, s[12:13] offset:176
	global_load_dwordx4 v[136:139], v96, s[12:13] offset:160
	v_mul_u32_u24_sdwa v96, v93, s2 dst_sel:DWORD dst_unused:UNUSED_PAD src0_sel:WORD_0 src1_sel:DWORD
	v_lshrrev_b32_e32 v98, 19, v96
	v_mul_lo_u16_e32 v96, 12, v98
	v_sub_u16_e32 v99, v93, v96
	v_lshlrev_b32_e32 v93, 5, v99
	global_load_dwordx4 v[140:143], v93, s[12:13] offset:176
	global_load_dwordx4 v[144:147], v93, s[12:13] offset:160
	v_mul_u32_u24_sdwa v93, v94, s2 dst_sel:DWORD dst_unused:UNUSED_PAD src0_sel:WORD_0 src1_sel:DWORD
	v_lshrrev_b32_e32 v96, 19, v93
	v_mul_lo_u16_e32 v93, 12, v96
	v_sub_u16_e32 v97, v94, v93
	v_lshlrev_b32_e32 v93, 5, v97
	;; [unrolled: 7-line block ×3, first 2 shown]
	global_load_dwordx4 v[156:159], v95, s[12:13] offset:160
	global_load_dwordx4 v[160:163], v95, s[12:13] offset:176
	s_mov_b32 s6, 0xe8584caa
	s_mov_b32 s7, 0xbfebb67a
	;; [unrolled: 1-line block ×4, first 2 shown]
	s_waitcnt lgkmcnt(0)
	; wave barrier
	s_waitcnt vmcnt(13) lgkmcnt(0)
	v_mul_f64 v[166:167], v[78:79], v[110:111]
	s_waitcnt vmcnt(12)
	v_mul_f64 v[164:165], v[82:83], v[114:115]
	v_mul_f64 v[114:115], v[80:81], v[114:115]
	;; [unrolled: 1-line block ×3, first 2 shown]
	s_waitcnt vmcnt(11)
	v_mul_f64 v[170:171], v[66:67], v[118:119]
	s_waitcnt vmcnt(10)
	v_mul_f64 v[168:169], v[74:75], v[122:123]
	v_mul_f64 v[122:123], v[72:73], v[122:123]
	v_fma_f64 v[80:81], v[80:81], v[112:113], v[164:165]
	v_fma_f64 v[76:77], v[76:77], v[108:109], v[166:167]
	v_mul_f64 v[118:119], v[64:65], v[118:119]
	s_waitcnt vmcnt(9)
	v_mul_f64 v[174:175], v[62:63], v[126:127]
	s_waitcnt vmcnt(8)
	v_mul_f64 v[172:173], v[70:71], v[130:131]
	v_mul_f64 v[130:131], v[68:69], v[130:131]
	;; [unrolled: 1-line block ×3, first 2 shown]
	v_fma_f64 v[82:83], v[82:83], v[112:113], -v[114:115]
	v_fma_f64 v[78:79], v[78:79], v[108:109], -v[110:111]
	v_fma_f64 v[72:73], v[72:73], v[120:121], v[168:169]
	v_fma_f64 v[74:75], v[74:75], v[120:121], -v[122:123]
	v_fma_f64 v[64:65], v[64:65], v[116:117], v[170:171]
	s_waitcnt vmcnt(6)
	v_mul_f64 v[176:177], v[58:59], v[138:139]
	v_mul_f64 v[178:179], v[54:55], v[134:135]
	;; [unrolled: 1-line block ×3, first 2 shown]
	v_fma_f64 v[66:67], v[66:67], v[116:117], -v[118:119]
	s_waitcnt vmcnt(5)
	v_mul_f64 v[182:183], v[46:47], v[142:143]
	v_mul_f64 v[142:143], v[44:45], v[142:143]
	s_waitcnt vmcnt(4)
	v_mul_f64 v[180:181], v[50:51], v[146:147]
	v_mul_f64 v[146:147], v[48:49], v[146:147]
	v_fma_f64 v[68:69], v[68:69], v[128:129], v[172:173]
	v_fma_f64 v[70:71], v[70:71], v[128:129], -v[130:131]
	s_waitcnt vmcnt(3)
	v_mul_f64 v[186:187], v[38:39], v[150:151]
	s_waitcnt vmcnt(2)
	v_mul_f64 v[184:185], v[42:43], v[154:155]
	v_mul_f64 v[154:155], v[40:41], v[154:155]
	;; [unrolled: 1-line block ×3, first 2 shown]
	v_fma_f64 v[120:121], v[44:45], v[140:141], v[182:183]
	v_add_f64 v[44:45], v[80:81], v[76:77]
	s_waitcnt vmcnt(1)
	v_mul_f64 v[188:189], v[18:19], v[158:159]
	v_mul_f64 v[158:159], v[16:17], v[158:159]
	s_waitcnt vmcnt(0)
	v_mul_f64 v[190:191], v[22:23], v[162:163]
	v_mul_f64 v[162:163], v[20:21], v[162:163]
	v_fma_f64 v[62:63], v[62:63], v[124:125], -v[126:127]
	v_fma_f64 v[122:123], v[46:47], v[140:141], -v[142:143]
	;; [unrolled: 1-line block ×3, first 2 shown]
	v_fma_f64 v[128:129], v[36:37], v[148:149], v[186:187]
	v_fma_f64 v[130:131], v[38:39], v[148:149], -v[150:151]
	v_add_f64 v[36:37], v[32:33], v[80:81]
	v_add_f64 v[38:39], v[82:83], -v[78:79]
	v_fma_f64 v[42:43], v[44:45], -0.5, v[32:33]
	v_add_f64 v[44:45], v[82:83], v[78:79]
	v_fma_f64 v[32:33], v[18:19], v[156:157], -v[158:159]
	v_fma_f64 v[18:19], v[20:21], v[160:161], v[190:191]
	v_fma_f64 v[20:21], v[22:23], v[160:161], -v[162:163]
	v_add_f64 v[22:23], v[34:35], v[82:83]
	v_add_f64 v[46:47], v[72:73], v[64:65]
	v_mul_f64 v[138:139], v[56:57], v[138:139]
	v_fma_f64 v[60:61], v[60:61], v[124:125], v[174:175]
	v_fma_f64 v[108:109], v[56:57], v[136:137], v[176:177]
	;; [unrolled: 1-line block ×3, first 2 shown]
	v_fma_f64 v[114:115], v[54:55], v[132:133], -v[134:135]
	v_fma_f64 v[116:117], v[48:49], v[144:145], v[180:181]
	v_fma_f64 v[118:119], v[50:51], v[144:145], -v[146:147]
	v_fma_f64 v[124:125], v[40:41], v[152:153], v[184:185]
	v_fma_f64 v[40:41], v[38:39], s[6:7], v[42:43]
	v_fma_f64 v[34:35], v[44:45], -0.5, v[34:35]
	v_add_f64 v[48:49], v[80:81], -v[76:77]
	v_fma_f64 v[44:45], v[38:39], s[2:3], v[42:43]
	v_add_f64 v[50:51], v[28:29], v[72:73]
	v_add_f64 v[38:39], v[22:23], v[78:79]
	;; [unrolled: 1-line block ×3, first 2 shown]
	v_fma_f64 v[52:53], v[46:47], -0.5, v[28:29]
	v_add_f64 v[54:55], v[74:75], -v[66:67]
	v_add_f64 v[56:57], v[30:31], v[74:75]
	v_fma_f64 v[110:111], v[58:59], v[136:137], -v[138:139]
	v_fma_f64 v[42:43], v[48:49], s[2:3], v[34:35]
	v_fma_f64 v[46:47], v[48:49], s[6:7], v[34:35]
	v_add_f64 v[28:29], v[50:51], v[64:65]
	v_add_f64 v[34:35], v[68:69], v[60:61]
	v_fma_f64 v[50:51], v[22:23], -0.5, v[30:31]
	v_add_f64 v[58:59], v[72:73], -v[64:65]
	v_fma_f64 v[22:23], v[54:55], s[6:7], v[52:53]
	v_fma_f64 v[48:49], v[54:55], s[2:3], v[52:53]
	v_add_f64 v[30:31], v[56:57], v[66:67]
	v_add_f64 v[52:53], v[70:71], v[62:63]
	;; [unrolled: 1-line block ×4, first 2 shown]
	v_fma_f64 v[34:35], v[34:35], -0.5, v[24:25]
	v_add_f64 v[64:65], v[70:71], -v[62:63]
	v_fma_f64 v[24:25], v[58:59], s[2:3], v[50:51]
	v_fma_f64 v[50:51], v[58:59], s[6:7], v[50:51]
	v_add_f64 v[58:59], v[26:27], v[70:71]
	v_fma_f64 v[26:27], v[52:53], -0.5, v[26:27]
	v_add_f64 v[68:69], v[68:69], -v[60:61]
	v_add_f64 v[70:71], v[12:13], v[108:109]
	v_fma_f64 v[12:13], v[66:67], -0.5, v[12:13]
	v_add_f64 v[66:67], v[110:111], -v[114:115]
	v_add_f64 v[52:53], v[54:55], v[60:61]
	v_fma_f64 v[56:57], v[64:65], s[6:7], v[34:35]
	v_fma_f64 v[60:61], v[64:65], s[2:3], v[34:35]
	v_add_f64 v[54:55], v[58:59], v[62:63]
	v_fma_f64 v[58:59], v[68:69], s[2:3], v[26:27]
	v_add_f64 v[34:35], v[110:111], v[114:115]
	;; [unrolled: 2-line block ×3, first 2 shown]
	v_fma_f64 v[68:69], v[66:67], s[6:7], v[12:13]
	v_fma_f64 v[72:73], v[66:67], s[2:3], v[12:13]
	v_add_f64 v[12:13], v[118:119], v[122:123]
	v_fma_f64 v[16:17], v[16:17], v[156:157], v[188:189]
	v_add_f64 v[36:37], v[36:37], v[76:77]
	v_add_f64 v[64:65], v[70:71], v[112:113]
	;; [unrolled: 1-line block ×3, first 2 shown]
	v_fma_f64 v[14:15], v[34:35], -0.5, v[14:15]
	v_add_f64 v[34:35], v[108:109], -v[112:113]
	v_add_f64 v[76:77], v[8:9], v[116:117]
	v_fma_f64 v[8:9], v[26:27], -0.5, v[8:9]
	v_add_f64 v[26:27], v[118:119], -v[122:123]
	v_add_f64 v[78:79], v[10:11], v[118:119]
	;; [unrolled: 3-line block ×3, first 2 shown]
	v_fma_f64 v[70:71], v[34:35], s[2:3], v[14:15]
	v_fma_f64 v[74:75], v[34:35], s[6:7], v[14:15]
	v_add_f64 v[14:15], v[126:127], v[130:131]
	v_fma_f64 v[80:81], v[26:27], s[6:7], v[8:9]
	v_fma_f64 v[108:109], v[26:27], s[2:3], v[8:9]
	v_add_f64 v[8:9], v[124:125], v[128:129]
	;; [unrolled: 3-line block ×3, first 2 shown]
	v_add_f64 v[34:35], v[32:33], v[20:21]
	v_add_f64 v[26:27], v[0:1], v[124:125]
	;; [unrolled: 1-line block ×3, first 2 shown]
	v_add_f64 v[114:115], v[126:127], -v[130:131]
	v_fma_f64 v[0:1], v[8:9], -0.5, v[0:1]
	v_add_f64 v[118:119], v[2:3], v[126:127]
	v_fma_f64 v[2:3], v[14:15], -0.5, v[2:3]
	v_add_f64 v[122:123], v[124:125], -v[128:129]
	v_fma_f64 v[8:9], v[10:11], -0.5, v[4:5]
	v_add_f64 v[12:13], v[32:33], -v[20:21]
	;; [unrolled: 2-line block ×3, first 2 shown]
	v_mov_b32_e32 v34, 4
	v_add_f64 v[112:113], v[26:27], v[128:129]
	v_mul_u32_u24_e32 v26, 0x240, v100
	v_lshlrev_b32_sdwa v27, v34, v101 dst_sel:DWORD dst_unused:UNUSED_PAD src0_sel:DWORD src1_sel:BYTE_0
	v_add3_u32 v26, 0, v26, v27
	v_add_f64 v[76:77], v[76:77], v[120:121]
	ds_write_b128 v26, v[36:39]
	ds_write_b128 v26, v[40:43] offset:192
	ds_write_b128 v26, v[44:47] offset:384
	v_mul_u32_u24_e32 v26, 0x240, v106
	v_lshlrev_b32_sdwa v27, v34, v107 dst_sel:DWORD dst_unused:UNUSED_PAD src0_sel:DWORD src1_sel:BYTE_0
	v_add3_u32 v26, 0, v26, v27
	v_fma_f64 v[116:117], v[114:115], s[6:7], v[0:1]
	v_fma_f64 v[120:121], v[114:115], s[2:3], v[0:1]
	v_add_f64 v[114:115], v[118:119], v[130:131]
	v_fma_f64 v[118:119], v[122:123], s[2:3], v[2:3]
	v_fma_f64 v[122:123], v[122:123], s[6:7], v[2:3]
	;; [unrolled: 1-line block ×4, first 2 shown]
	ds_write_b128 v26, v[28:31]
	ds_write_b128 v26, v[22:25] offset:192
	ds_write_b128 v26, v[48:51] offset:384
	v_mul_u32_u24_e32 v22, 0x240, v104
	v_lshlrev_b32_sdwa v23, v34, v105 dst_sel:DWORD dst_unused:UNUSED_PAD src0_sel:DWORD src1_sel:BYTE_0
	v_add3_u32 v22, 0, v22, v23
	ds_write_b128 v22, v[52:55]
	ds_write_b128 v22, v[56:59] offset:192
	ds_write_b128 v22, v[60:63] offset:384
	v_mul_u32_u24_e32 v22, 0x240, v102
	v_lshlrev_b32_sdwa v23, v34, v103 dst_sel:DWORD dst_unused:UNUSED_PAD src0_sel:DWORD src1_sel:BYTE_0
	v_add3_u32 v22, 0, v22, v23
	ds_write_b128 v22, v[64:67]
	ds_write_b128 v22, v[68:71] offset:192
	ds_write_b128 v22, v[72:75] offset:384
	v_mul_u32_u24_e32 v22, 0x240, v98
	v_lshlrev_b32_e32 v23, 4, v99
	v_add3_u32 v22, 0, v22, v23
	ds_write_b128 v22, v[76:79]
	ds_write_b128 v22, v[80:83] offset:192
	ds_write_b128 v22, v[108:111] offset:384
	v_mul_u32_u24_e32 v22, 0x240, v96
	v_lshlrev_b32_e32 v23, 4, v97
	v_add3_u32 v22, 0, v22, v23
	ds_write_b128 v22, v[112:115]
	ds_write_b128 v22, v[116:119] offset:192
	ds_write_b128 v22, v[120:123] offset:384
	s_and_saveexec_b64 s[6:7], vcc
	s_cbranch_execz .LBB0_27
; %bb.26:
	v_mul_f64 v[14:15], v[14:15], s[2:3]
	v_add_f64 v[22:23], v[6:7], v[32:33]
	v_add_f64 v[4:5], v[4:5], v[16:17]
	v_mul_f64 v[16:17], v[12:13], s[2:3]
	v_add_f64 v[6:7], v[14:15], v[10:11]
	v_add_f64 v[12:13], v[22:23], v[20:21]
	;; [unrolled: 1-line block ×3, first 2 shown]
	v_add_f64 v[4:5], v[8:9], -v[16:17]
	v_mul_lo_u16_e32 v8, 36, v93
	v_lshlrev_b32_e32 v9, 4, v94
	v_lshlrev_b32_e32 v8, 4, v8
	v_add3_u32 v8, 0, v9, v8
	ds_write_b128 v8, v[10:13]
	ds_write_b128 v8, v[4:7] offset:192
	ds_write_b128 v8, v[0:3] offset:384
.LBB0_27:
	s_or_b64 exec, exec, s[6:7]
	v_mov_b32_e32 v38, 57
	v_mul_lo_u16_sdwa v4, v92, v38 dst_sel:DWORD dst_unused:UNUSED_PAD src0_sel:BYTE_0 src1_sel:DWORD
	v_lshrrev_b16_e32 v32, 11, v4
	v_mul_lo_u16_e32 v4, 36, v32
	v_sub_u16_e32 v33, v92, v4
	v_mov_b32_e32 v60, 6
	v_subrev_u32_e32 v12, 36, v86
	v_cmp_gt_u32_e32 vcc, 36, v86
	v_lshlrev_b32_sdwa v22, v60, v33 dst_sel:DWORD dst_unused:UNUSED_PAD src0_sel:DWORD src1_sel:BYTE_0
	v_cndmask_b32_e32 v37, v12, v86, vcc
	s_waitcnt lgkmcnt(0)
	; wave barrier
	s_waitcnt lgkmcnt(0)
	global_load_dwordx4 v[4:7], v22, s[12:13] offset:544
	global_load_dwordx4 v[8:11], v22, s[12:13] offset:560
	v_mov_b32_e32 v13, 0
	v_lshlrev_b32_e32 v12, 2, v37
	v_lshlrev_b64 v[20:21], 4, v[12:13]
	v_mov_b32_e32 v23, s13
	v_add_co_u32_e32 v35, vcc, s12, v20
	global_load_dwordx4 v[12:15], v22, s[12:13] offset:576
	global_load_dwordx4 v[16:19], v22, s[12:13] offset:592
	v_addc_co_u32_e32 v36, vcc, v23, v21, vcc
	global_load_dwordx4 v[20:23], v[35:36], off offset:544
	global_load_dwordx4 v[24:27], v[35:36], off offset:560
	v_mul_lo_u16_sdwa v39, v87, v38 dst_sel:DWORD dst_unused:UNUSED_PAD src0_sel:BYTE_0 src1_sel:DWORD
	global_load_dwordx4 v[28:31], v[35:36], off offset:576
	global_load_dwordx4 v[40:43], v[35:36], off offset:592
	v_lshrrev_b16_e32 v35, 11, v39
	v_mul_lo_u16_e32 v36, 36, v35
	v_sub_u16_e32 v36, v87, v36
	v_lshlrev_b32_sdwa v39, v60, v36 dst_sel:DWORD dst_unused:UNUSED_PAD src0_sel:DWORD src1_sel:BYTE_0
	global_load_dwordx4 v[44:47], v39, s[12:13] offset:544
	global_load_dwordx4 v[48:51], v39, s[12:13] offset:560
	;; [unrolled: 1-line block ×4, first 2 shown]
	v_mul_lo_u16_sdwa v38, v91, v38 dst_sel:DWORD dst_unused:UNUSED_PAD src0_sel:BYTE_0 src1_sel:DWORD
	v_lshrrev_b16_e32 v38, 11, v38
	v_mul_lo_u16_e32 v39, 36, v38
	v_sub_u16_e32 v39, v91, v39
	v_lshlrev_b32_sdwa v95, v60, v39 dst_sel:DWORD dst_unused:UNUSED_PAD src0_sel:DWORD src1_sel:BYTE_0
	global_load_dwordx4 v[60:63], v95, s[12:13] offset:544
	global_load_dwordx4 v[64:67], v95, s[12:13] offset:560
	;; [unrolled: 1-line block ×3, first 2 shown]
	ds_read_b128 v[72:75], v90
	ds_read_b128 v[76:79], v90 offset:1008
	ds_read_b128 v[80:83], v90 offset:5040
	;; [unrolled: 1-line block ×3, first 2 shown]
	global_load_dwordx4 v[95:98], v95, s[12:13] offset:592
	ds_read_b128 v[99:102], v90 offset:9072
	ds_read_b128 v[103:106], v90 offset:8064
	ds_read_b128 v[107:110], v90 offset:13104
	ds_read_b128 v[111:114], v90 offset:12096
	ds_read_b128 v[115:118], v90 offset:17136
	ds_read_b128 v[119:122], v90 offset:16128
	ds_read_b128 v[123:126], v90 offset:6048
	ds_read_b128 v[127:130], v90 offset:7056
	ds_read_b128 v[131:134], v90 offset:18144
	ds_read_b128 v[135:138], v90 offset:10080
	ds_read_b128 v[139:142], v90 offset:11088
	s_mov_b32 s2, 0x134454ff
	s_mov_b32 s3, 0xbfee6f0e
	;; [unrolled: 1-line block ×10, first 2 shown]
	v_cmp_lt_u32_e32 vcc, 35, v86
	v_lshlrev_b32_e32 v37, 4, v37
	s_waitcnt vmcnt(15) lgkmcnt(12)
	v_mul_f64 v[143:144], v[82:83], v[6:7]
	v_mul_f64 v[6:7], v[80:81], v[6:7]
	s_waitcnt vmcnt(14) lgkmcnt(10)
	v_mul_f64 v[145:146], v[101:102], v[10:11]
	v_mul_f64 v[10:11], v[99:100], v[10:11]
	;; [unrolled: 3-line block ×4, first 2 shown]
	s_waitcnt vmcnt(11)
	v_mul_f64 v[151:152], v[93:94], v[22:23]
	v_mul_f64 v[22:23], v[91:92], v[22:23]
	v_fma_f64 v[80:81], v[80:81], v[4:5], v[143:144]
	v_fma_f64 v[82:83], v[82:83], v[4:5], -v[6:7]
	ds_read_b128 v[4:7], v90 offset:14112
	s_waitcnt vmcnt(10)
	v_mul_f64 v[153:154], v[105:106], v[26:27]
	v_mul_f64 v[26:27], v[103:104], v[26:27]
	s_waitcnt vmcnt(9)
	v_mul_f64 v[155:156], v[113:114], v[30:31]
	s_waitcnt vmcnt(8) lgkmcnt(6)
	v_mul_f64 v[157:158], v[121:122], v[42:43]
	s_waitcnt vmcnt(7) lgkmcnt(5)
	v_mul_f64 v[159:160], v[125:126], v[46:47]
	v_mul_f64 v[46:47], v[123:124], v[46:47]
	v_fma_f64 v[107:108], v[107:108], v[12:13], v[147:148]
	v_fma_f64 v[109:110], v[109:110], v[12:13], -v[14:15]
	v_fma_f64 v[117:118], v[117:118], v[16:17], -v[18:19]
	v_fma_f64 v[91:92], v[91:92], v[20:21], v[151:152]
	v_fma_f64 v[93:94], v[93:94], v[20:21], -v[22:23]
	ds_read_b128 v[18:21], v90 offset:15120
	s_waitcnt vmcnt(5) lgkmcnt(1)
	v_mul_f64 v[12:13], v[6:7], v[54:55]
	v_mul_f64 v[30:31], v[111:112], v[30:31]
	v_mul_f64 v[42:43], v[119:120], v[42:43]
	v_fma_f64 v[99:100], v[99:100], v[8:9], v[145:146]
	v_fma_f64 v[101:102], v[101:102], v[8:9], -v[10:11]
	v_fma_f64 v[103:104], v[103:104], v[24:25], v[153:154]
	v_fma_f64 v[26:27], v[105:106], v[24:25], -v[26:27]
	v_fma_f64 v[105:106], v[111:112], v[28:29], v[155:156]
	v_fma_f64 v[111:112], v[119:120], v[40:41], v[157:158]
	v_mul_f64 v[8:9], v[137:138], v[50:51]
	v_mul_f64 v[14:15], v[4:5], v[54:55]
	v_fma_f64 v[119:120], v[125:126], v[44:45], -v[46:47]
	v_fma_f64 v[125:126], v[4:5], v[52:53], v[12:13]
	s_waitcnt vmcnt(3)
	v_mul_f64 v[4:5], v[129:130], v[62:63]
	v_fma_f64 v[42:43], v[121:122], v[40:41], -v[42:43]
	v_mul_f64 v[10:11], v[135:136], v[50:51]
	v_add_f64 v[40:41], v[103:104], v[105:106]
	v_fma_f64 v[121:122], v[135:136], v[48:49], v[8:9]
	v_fma_f64 v[135:136], v[6:7], v[52:53], -v[14:15]
	v_mul_f64 v[6:7], v[127:128], v[62:63]
	v_add_f64 v[14:15], v[72:73], v[91:92]
	v_fma_f64 v[8:9], v[127:128], v[60:61], v[4:5]
	s_waitcnt vmcnt(1) lgkmcnt(0)
	v_mul_f64 v[4:5], v[20:21], v[70:71]
	ds_read_b128 v[22:25], v90 offset:19152
	v_fma_f64 v[115:116], v[115:116], v[16:17], v[149:150]
	v_fma_f64 v[30:31], v[113:114], v[28:29], -v[30:31]
	v_fma_f64 v[113:114], v[123:124], v[44:45], v[159:160]
	v_mul_f64 v[16:17], v[133:134], v[58:59]
	v_mul_f64 v[28:29], v[131:132], v[58:59]
	v_fma_f64 v[123:124], v[137:138], v[48:49], -v[10:11]
	v_mul_f64 v[10:11], v[141:142], v[66:67]
	v_mul_f64 v[44:45], v[18:19], v[70:71]
	v_fma_f64 v[12:13], v[129:130], v[60:61], -v[6:7]
	v_add_f64 v[6:7], v[14:15], v[103:104]
	v_fma_f64 v[40:41], v[40:41], -0.5, v[72:73]
	v_add_f64 v[46:47], v[93:94], -v[42:43]
	v_fma_f64 v[18:19], v[18:19], v[68:69], v[4:5]
	s_waitcnt vmcnt(0) lgkmcnt(0)
	v_mul_f64 v[4:5], v[24:25], v[97:98]
	v_add_f64 v[50:51], v[91:92], v[111:112]
	v_fma_f64 v[131:132], v[131:132], v[56:57], v[16:17]
	v_fma_f64 v[133:134], v[133:134], v[56:57], -v[28:29]
	v_mul_f64 v[28:29], v[139:140], v[66:67]
	v_fma_f64 v[16:17], v[139:140], v[64:65], v[10:11]
	v_fma_f64 v[10:11], v[20:21], v[68:69], -v[44:45]
	v_add_f64 v[6:7], v[6:7], v[105:106]
	v_fma_f64 v[44:45], v[46:47], s[2:3], v[40:41]
	v_add_f64 v[48:49], v[26:27], -v[30:31]
	v_fma_f64 v[127:128], v[22:23], v[95:96], v[4:5]
	v_fma_f64 v[4:5], v[50:51], -0.5, v[72:73]
	v_fma_f64 v[14:15], v[141:142], v[64:65], -v[28:29]
	v_mul_f64 v[20:21], v[22:23], v[97:98]
	v_add_f64 v[52:53], v[91:92], -v[103:104]
	v_add_f64 v[54:55], v[111:112], -v[105:106]
	v_add_f64 v[28:29], v[6:7], v[111:112]
	v_fma_f64 v[6:7], v[48:49], s[6:7], v[44:45]
	v_fma_f64 v[40:41], v[46:47], s[8:9], v[40:41]
	;; [unrolled: 1-line block ×4, first 2 shown]
	v_fma_f64 v[22:23], v[24:25], v[95:96], -v[20:21]
	v_add_f64 v[50:51], v[103:104], -v[91:92]
	v_add_f64 v[20:21], v[52:53], v[54:55]
	v_add_f64 v[52:53], v[105:106], -v[111:112]
	v_add_f64 v[54:55], v[74:75], v[93:94]
	v_add_f64 v[24:25], v[26:27], v[30:31]
	v_fma_f64 v[58:59], v[46:47], s[6:7], v[44:45]
	v_fma_f64 v[4:5], v[46:47], s[14:15], v[4:5]
	v_add_f64 v[46:47], v[93:94], v[42:43]
	v_fma_f64 v[48:49], v[48:49], s[14:15], v[40:41]
	v_add_f64 v[62:63], v[103:104], -v[105:106]
	v_add_f64 v[50:51], v[50:51], v[52:53]
	v_add_f64 v[54:55], v[54:55], v[26:27]
	v_fma_f64 v[40:41], v[20:21], s[16:17], v[6:7]
	v_fma_f64 v[24:25], v[24:25], -0.5, v[74:75]
	v_add_f64 v[56:57], v[91:92], -v[111:112]
	v_fma_f64 v[6:7], v[46:47], -0.5, v[74:75]
	v_fma_f64 v[44:45], v[20:21], s[16:17], v[48:49]
	v_add_f64 v[20:21], v[93:94], -v[26:27]
	v_fma_f64 v[48:49], v[50:51], s[16:17], v[58:59]
	v_fma_f64 v[52:53], v[50:51], s[16:17], v[4:5]
	v_add_f64 v[4:5], v[54:55], v[30:31]
	v_add_f64 v[46:47], v[99:100], v[107:108]
	v_add_f64 v[50:51], v[42:43], -v[30:31]
	v_fma_f64 v[54:55], v[62:63], s[2:3], v[6:7]
	v_fma_f64 v[6:7], v[62:63], s[8:9], v[6:7]
	v_add_f64 v[58:59], v[76:77], v[80:81]
	v_fma_f64 v[60:61], v[56:57], s[8:9], v[24:25]
	v_fma_f64 v[24:25], v[56:57], s[2:3], v[24:25]
	v_add_f64 v[26:27], v[26:27], -v[93:94]
	v_add_f64 v[30:31], v[30:31], -v[42:43]
	v_fma_f64 v[64:65], v[46:47], -0.5, v[76:77]
	v_add_f64 v[20:21], v[20:21], v[50:51]
	v_add_f64 v[66:67], v[82:83], -v[117:118]
	v_fma_f64 v[50:51], v[56:57], s[14:15], v[54:55]
	v_fma_f64 v[6:7], v[56:57], s[6:7], v[6:7]
	v_add_f64 v[56:57], v[58:59], v[99:100]
	v_add_f64 v[58:59], v[80:81], v[115:116]
	v_fma_f64 v[46:47], v[62:63], s[14:15], v[60:61]
	v_fma_f64 v[24:25], v[62:63], s[6:7], v[24:25]
	v_add_f64 v[26:27], v[26:27], v[30:31]
	v_fma_f64 v[60:61], v[66:67], s[2:3], v[64:65]
	v_add_f64 v[62:63], v[101:102], -v[109:110]
	v_add_f64 v[30:31], v[4:5], v[42:43]
	v_add_f64 v[68:69], v[99:100], -v[80:81]
	v_fma_f64 v[4:5], v[58:59], -0.5, v[76:77]
	v_fma_f64 v[42:43], v[20:21], s[16:17], v[46:47]
	v_fma_f64 v[46:47], v[20:21], s[16:17], v[24:25]
	;; [unrolled: 1-line block ×4, first 2 shown]
	v_add_f64 v[6:7], v[56:57], v[107:108]
	v_fma_f64 v[20:21], v[62:63], s[6:7], v[60:61]
	v_add_f64 v[24:25], v[80:81], -v[99:100]
	v_add_f64 v[26:27], v[78:79], v[82:83]
	v_add_f64 v[56:57], v[101:102], v[109:110]
	v_add_f64 v[58:59], v[115:116], -v[107:108]
	v_fma_f64 v[60:61], v[66:67], s[8:9], v[64:65]
	v_fma_f64 v[64:65], v[62:63], s[8:9], v[4:5]
	;; [unrolled: 1-line block ×3, first 2 shown]
	v_add_f64 v[70:71], v[107:108], -v[115:116]
	v_add_f64 v[76:77], v[80:81], -v[115:116]
	v_add_f64 v[26:27], v[26:27], v[101:102]
	v_fma_f64 v[74:75], v[56:57], -0.5, v[78:79]
	v_add_f64 v[24:25], v[24:25], v[58:59]
	v_fma_f64 v[58:59], v[62:63], s[14:15], v[60:61]
	v_fma_f64 v[62:63], v[66:67], s[6:7], v[64:65]
	v_fma_f64 v[4:5], v[66:67], s[14:15], v[4:5]
	v_add_f64 v[66:67], v[82:83], v[117:118]
	v_add_f64 v[70:71], v[68:69], v[70:71]
	;; [unrolled: 1-line block ×3, first 2 shown]
	v_fma_f64 v[80:81], v[76:77], s[8:9], v[74:75]
	v_add_f64 v[91:92], v[99:100], -v[107:108]
	v_fma_f64 v[60:61], v[24:25], s[16:17], v[20:21]
	v_add_f64 v[56:57], v[6:7], v[115:116]
	v_fma_f64 v[64:65], v[24:25], s[16:17], v[58:59]
	v_fma_f64 v[20:21], v[66:67], -0.5, v[78:79]
	v_fma_f64 v[72:73], v[70:71], s[16:17], v[4:5]
	ds_read_b128 v[4:7], v90 offset:2016
	v_fma_f64 v[68:69], v[70:71], s[16:17], v[62:63]
	v_add_f64 v[58:59], v[26:27], v[117:118]
	ds_read_b128 v[24:27], v90 offset:3024
	v_fma_f64 v[62:63], v[91:92], s[14:15], v[80:81]
	v_add_f64 v[66:67], v[82:83], -v[101:102]
	v_add_f64 v[70:71], v[117:118], -v[109:110]
	s_waitcnt lgkmcnt(1)
	v_add_f64 v[78:79], v[4:5], v[113:114]
	v_fma_f64 v[74:75], v[76:77], s[2:3], v[74:75]
	v_add_f64 v[80:81], v[121:122], v[125:126]
	v_fma_f64 v[93:94], v[91:92], s[2:3], v[20:21]
	v_add_f64 v[82:83], v[101:102], -v[82:83]
	v_add_f64 v[95:96], v[109:110], -v[117:118]
	v_fma_f64 v[20:21], v[91:92], s[8:9], v[20:21]
	v_add_f64 v[66:67], v[66:67], v[70:71]
	v_add_f64 v[70:71], v[78:79], v[121:122]
	v_fma_f64 v[74:75], v[91:92], s[6:7], v[74:75]
	v_fma_f64 v[78:79], v[80:81], -0.5, v[4:5]
	v_add_f64 v[80:81], v[119:120], -v[133:134]
	v_fma_f64 v[91:92], v[76:77], s[14:15], v[93:94]
	v_add_f64 v[82:83], v[82:83], v[95:96]
	v_add_f64 v[93:94], v[113:114], v[131:132]
	v_fma_f64 v[20:21], v[76:77], s[6:7], v[20:21]
	v_fma_f64 v[62:63], v[66:67], s[16:17], v[62:63]
	;; [unrolled: 1-line block ×3, first 2 shown]
	v_add_f64 v[97:98], v[123:124], -v[135:136]
	v_fma_f64 v[95:96], v[80:81], s[2:3], v[78:79]
	v_fma_f64 v[78:79], v[80:81], s[8:9], v[78:79]
	v_add_f64 v[76:77], v[70:71], v[125:126]
	v_fma_f64 v[4:5], v[93:94], -0.5, v[4:5]
	v_fma_f64 v[74:75], v[82:83], s[16:17], v[20:21]
	v_add_f64 v[20:21], v[113:114], -v[121:122]
	v_add_f64 v[93:94], v[131:132], -v[125:126]
	v_fma_f64 v[70:71], v[82:83], s[16:17], v[91:92]
	v_add_f64 v[82:83], v[6:7], v[119:120]
	v_add_f64 v[91:92], v[123:124], v[135:136]
	v_add_f64 v[101:102], v[121:122], -v[113:114]
	v_add_f64 v[103:104], v[125:126], -v[131:132]
	v_fma_f64 v[99:100], v[97:98], s[8:9], v[4:5]
	v_add_f64 v[105:106], v[113:114], -v[131:132]
	v_add_f64 v[20:21], v[20:21], v[93:94]
	v_fma_f64 v[93:94], v[97:98], s[14:15], v[78:79]
	v_add_f64 v[78:79], v[119:120], v[133:134]
	v_add_f64 v[82:83], v[82:83], v[123:124]
	v_fma_f64 v[91:92], v[91:92], -0.5, v[6:7]
	v_fma_f64 v[4:5], v[97:98], s[2:3], v[4:5]
	v_fma_f64 v[95:96], v[97:98], s[6:7], v[95:96]
	v_add_f64 v[97:98], v[101:102], v[103:104]
	v_add_f64 v[103:104], v[121:122], -v[125:126]
	v_add_f64 v[109:110], v[119:120], -v[123:124]
	v_fma_f64 v[6:7], v[78:79], -0.5, v[6:7]
	v_add_f64 v[111:112], v[133:134], -v[135:136]
	v_add_f64 v[82:83], v[82:83], v[135:136]
	v_fma_f64 v[101:102], v[105:106], s[8:9], v[91:92]
	v_fma_f64 v[99:100], v[80:81], s[6:7], v[99:100]
	;; [unrolled: 1-line block ×3, first 2 shown]
	s_waitcnt lgkmcnt(0)
	v_add_f64 v[4:5], v[24:25], v[8:9]
	v_fma_f64 v[80:81], v[105:106], s[2:3], v[91:92]
	v_add_f64 v[91:92], v[123:124], -v[119:120]
	v_add_f64 v[109:110], v[109:110], v[111:112]
	v_add_f64 v[111:112], v[135:136], -v[133:134]
	v_fma_f64 v[115:116], v[103:104], s[2:3], v[6:7]
	v_fma_f64 v[6:7], v[103:104], s[8:9], v[6:7]
	v_add_f64 v[107:108], v[16:17], v[18:19]
	v_add_f64 v[78:79], v[82:83], v[133:134]
	v_fma_f64 v[82:83], v[103:104], s[14:15], v[101:102]
	v_add_f64 v[117:118], v[4:5], v[16:17]
	v_add_f64 v[4:5], v[8:9], -v[16:17]
	v_add_f64 v[119:120], v[127:128], -v[18:19]
	v_fma_f64 v[103:104], v[103:104], s[6:7], v[80:81]
	v_add_f64 v[123:124], v[8:9], v[127:128]
	v_add_f64 v[111:112], v[91:92], v[111:112]
	v_fma_f64 v[115:116], v[105:106], s[14:15], v[115:116]
	v_fma_f64 v[105:106], v[105:106], s[6:7], v[6:7]
	v_fma_f64 v[101:102], v[107:108], -0.5, v[24:25]
	v_add_f64 v[107:108], v[12:13], -v[22:23]
	v_add_f64 v[125:126], v[14:15], -v[10:11]
	v_add_f64 v[119:120], v[4:5], v[119:120]
	v_fma_f64 v[80:81], v[20:21], s[16:17], v[95:96]
	v_fma_f64 v[4:5], v[20:21], s[16:17], v[93:94]
	v_fma_f64 v[20:21], v[123:124], -0.5, v[24:25]
	v_fma_f64 v[6:7], v[109:110], s[16:17], v[103:104]
	v_add_f64 v[103:104], v[14:15], v[10:11]
	v_fma_f64 v[91:92], v[97:98], s[16:17], v[99:100]
	v_fma_f64 v[95:96], v[97:98], s[16:17], v[113:114]
	;; [unrolled: 1-line block ×4, first 2 shown]
	v_add_f64 v[111:112], v[12:13], v[22:23]
	v_fma_f64 v[121:122], v[107:108], s[2:3], v[101:102]
	v_fma_f64 v[82:83], v[109:110], s[16:17], v[82:83]
	v_add_f64 v[24:25], v[117:118], v[18:19]
	v_fma_f64 v[101:102], v[107:108], s[8:9], v[101:102]
	v_fma_f64 v[105:106], v[125:126], s[8:9], v[20:21]
	v_add_f64 v[109:110], v[16:17], -v[8:9]
	v_add_f64 v[113:114], v[18:19], -v[127:128]
	;; [unrolled: 1-line block ×3, first 2 shown]
	v_add_f64 v[18:19], v[26:27], v[12:13]
	v_fma_f64 v[103:104], v[103:104], -0.5, v[26:27]
	v_add_f64 v[115:116], v[8:9], -v[127:128]
	v_fma_f64 v[26:27], v[111:112], -0.5, v[26:27]
	v_fma_f64 v[99:100], v[125:126], s[6:7], v[121:122]
	v_add_f64 v[8:9], v[24:25], v[127:128]
	v_fma_f64 v[24:25], v[125:126], s[14:15], v[101:102]
	v_fma_f64 v[101:102], v[107:108], s[6:7], v[105:106]
	v_add_f64 v[105:106], v[109:110], v[113:114]
	v_add_f64 v[18:19], v[18:19], v[14:15]
	v_fma_f64 v[109:110], v[115:116], s[8:9], v[103:104]
	v_add_f64 v[111:112], v[12:13], -v[14:15]
	v_add_f64 v[113:114], v[22:23], -v[10:11]
	v_fma_f64 v[103:104], v[115:116], s[2:3], v[103:104]
	v_fma_f64 v[20:21], v[125:126], s[2:3], v[20:21]
	;; [unrolled: 1-line block ×3, first 2 shown]
	v_add_f64 v[14:15], v[14:15], -v[12:13]
	v_add_f64 v[121:122], v[10:11], -v[22:23]
	v_fma_f64 v[26:27], v[16:17], s[8:9], v[26:27]
	v_fma_f64 v[12:13], v[119:120], s[16:17], v[99:100]
	v_add_f64 v[10:11], v[18:19], v[10:11]
	v_fma_f64 v[18:19], v[16:17], s[14:15], v[109:110]
	v_add_f64 v[99:100], v[111:112], v[113:114]
	v_fma_f64 v[103:104], v[16:17], s[6:7], v[103:104]
	v_fma_f64 v[20:21], v[107:108], s[14:15], v[20:21]
	;; [unrolled: 1-line block ×3, first 2 shown]
	v_add_f64 v[109:110], v[14:15], v[121:122]
	v_fma_f64 v[111:112], v[115:116], s[6:7], v[26:27]
	v_add_f64 v[76:77], v[76:77], v[131:132]
	v_add_f64 v[10:11], v[10:11], v[22:23]
	v_fma_f64 v[14:15], v[99:100], s[16:17], v[18:19]
	v_fma_f64 v[26:27], v[99:100], s[16:17], v[103:104]
	v_mov_b32_e32 v99, 0xb40
	v_cndmask_b32_e32 v99, 0, v99, vcc
	v_add3_u32 v37, 0, v99, v37
	v_fma_f64 v[16:17], v[105:106], s[16:17], v[101:102]
	v_fma_f64 v[18:19], v[109:110], s[16:17], v[107:108]
	s_waitcnt lgkmcnt(0)
	; wave barrier
	ds_write_b128 v37, v[28:31]
	ds_write_b128 v37, v[40:43] offset:576
	ds_write_b128 v37, v[48:51] offset:1152
	;; [unrolled: 1-line block ×4, first 2 shown]
	v_mul_u32_u24_e32 v28, 0xb40, v32
	v_lshlrev_b32_sdwa v29, v34, v33 dst_sel:DWORD dst_unused:UNUSED_PAD src0_sel:DWORD src1_sel:BYTE_0
	v_fma_f64 v[20:21], v[105:106], s[16:17], v[20:21]
	v_fma_f64 v[22:23], v[109:110], s[16:17], v[111:112]
	v_add3_u32 v28, 0, v28, v29
	v_fma_f64 v[24:25], v[119:120], s[16:17], v[24:25]
	ds_write_b128 v28, v[56:59]
	ds_write_b128 v28, v[60:63] offset:576
	ds_write_b128 v28, v[68:71] offset:1152
	;; [unrolled: 1-line block ×4, first 2 shown]
	v_mul_u32_u24_e32 v28, 0xb40, v35
	v_lshlrev_b32_sdwa v29, v34, v36 dst_sel:DWORD dst_unused:UNUSED_PAD src0_sel:DWORD src1_sel:BYTE_0
	v_add3_u32 v28, 0, v28, v29
	ds_write_b128 v28, v[76:79]
	ds_write_b128 v28, v[80:83] offset:576
	ds_write_b128 v28, v[91:94] offset:1152
	;; [unrolled: 1-line block ×4, first 2 shown]
	v_mul_u32_u24_e32 v28, 0xb40, v38
	v_lshlrev_b32_sdwa v29, v34, v39 dst_sel:DWORD dst_unused:UNUSED_PAD src0_sel:DWORD src1_sel:BYTE_0
	v_add3_u32 v28, 0, v28, v29
	ds_write_b128 v28, v[8:11]
	ds_write_b128 v28, v[12:15] offset:576
	ds_write_b128 v28, v[16:19] offset:1152
	;; [unrolled: 1-line block ×4, first 2 shown]
	s_waitcnt lgkmcnt(0)
	; wave barrier
	s_waitcnt lgkmcnt(0)
	ds_read_b128 v[36:39], v90
	ds_read_b128 v[28:31], v90 offset:1008
	ds_read_b128 v[60:63], v90 offset:2880
	;; [unrolled: 1-line block ×13, first 2 shown]
	v_cmp_gt_u32_e32 vcc, 54, v86
	s_and_saveexec_b64 s[2:3], vcc
	s_cbranch_execz .LBB0_29
; %bb.28:
	ds_read_b128 v[4:7], v90 offset:2016
	ds_read_b128 v[8:11], v90 offset:4896
	;; [unrolled: 1-line block ×7, first 2 shown]
.LBB0_29:
	s_or_b64 exec, exec, s[2:3]
	v_mul_u32_u24_e32 v91, 6, v86
	v_lshlrev_b32_e32 v115, 4, v91
	global_load_dwordx4 v[91:94], v115, s[12:13] offset:2848
	global_load_dwordx4 v[95:98], v115, s[12:13] offset:2864
	;; [unrolled: 1-line block ×6, first 2 shown]
	v_mov_b32_e32 v116, s13
	v_add_co_u32_e64 v115, s[2:3], s12, v115
	s_movk_i32 s6, 0x17a0
	v_addc_co_u32_e64 v116, s[2:3], 0, v116, s[2:3]
	v_add_co_u32_e64 v135, s[2:3], s6, v115
	v_addc_co_u32_e64 v136, s[2:3], 0, v116, s[2:3]
	global_load_dwordx4 v[115:118], v[135:136], off offset:2848
	global_load_dwordx4 v[119:122], v[135:136], off offset:2864
	global_load_dwordx4 v[123:126], v[135:136], off offset:2880
	global_load_dwordx4 v[127:130], v[135:136], off offset:2896
	global_load_dwordx4 v[131:134], v[135:136], off offset:2912
	s_nop 0
	global_load_dwordx4 v[135:138], v[135:136], off offset:2928
	s_mov_b32 s8, 0x37e14327
	s_mov_b32 s14, 0x36b3c0b5
	;; [unrolled: 1-line block ×20, first 2 shown]
	s_waitcnt lgkmcnt(0)
	; wave barrier
	s_waitcnt vmcnt(9) lgkmcnt(0)
	v_mul_f64 v[143:144], v[70:71], v[101:102]
	v_mul_f64 v[139:140], v[62:63], v[93:94]
	;; [unrolled: 1-line block ×5, first 2 shown]
	s_waitcnt vmcnt(6)
	v_mul_f64 v[147:148], v[78:79], v[113:114]
	v_mul_f64 v[113:114], v[76:77], v[113:114]
	v_mul_f64 v[149:150], v[82:83], v[109:110]
	v_mul_f64 v[109:110], v[80:81], v[109:110]
	v_mul_f64 v[101:102], v[68:69], v[101:102]
	v_mul_f64 v[145:146], v[74:75], v[105:106]
	v_mul_f64 v[105:106], v[72:73], v[105:106]
	s_waitcnt vmcnt(5)
	v_mul_f64 v[151:152], v[42:43], v[117:118]
	v_mul_f64 v[117:118], v[40:41], v[117:118]
	s_waitcnt vmcnt(3)
	v_mul_f64 v[155:156], v[50:51], v[125:126]
	v_mul_f64 v[125:126], v[48:49], v[125:126]
	v_fma_f64 v[60:61], v[60:61], v[91:92], v[139:140]
	v_fma_f64 v[62:63], v[62:63], v[91:92], -v[93:94]
	v_fma_f64 v[64:65], v[64:65], v[95:96], v[141:142]
	v_fma_f64 v[66:67], v[66:67], v[95:96], -v[97:98]
	;; [unrolled: 2-line block ×4, first 2 shown]
	v_mul_f64 v[153:154], v[46:47], v[121:122]
	v_mul_f64 v[121:122], v[44:45], v[121:122]
	s_waitcnt vmcnt(2)
	v_mul_f64 v[157:158], v[54:55], v[129:130]
	v_mul_f64 v[129:130], v[52:53], v[129:130]
	v_fma_f64 v[68:69], v[68:69], v[99:100], v[143:144]
	v_fma_f64 v[70:71], v[70:71], v[99:100], -v[101:102]
	v_fma_f64 v[72:73], v[72:73], v[103:104], v[145:146]
	v_fma_f64 v[74:75], v[74:75], v[103:104], -v[105:106]
	;; [unrolled: 2-line block ×4, first 2 shown]
	v_add_f64 v[40:41], v[60:61], v[80:81]
	v_add_f64 v[42:43], v[62:63], v[82:83]
	v_add_f64 v[48:49], v[64:65], v[76:77]
	v_add_f64 v[50:51], v[66:67], v[78:79]
	v_fma_f64 v[95:96], v[44:45], v[119:120], v[153:154]
	v_fma_f64 v[97:98], v[46:47], v[119:120], -v[121:122]
	v_fma_f64 v[103:104], v[52:53], v[127:128], v[157:158]
	v_fma_f64 v[105:106], v[54:55], v[127:128], -v[129:130]
	v_add_f64 v[44:45], v[60:61], -v[80:81]
	v_add_f64 v[46:47], v[62:63], -v[82:83]
	;; [unrolled: 1-line block ×4, first 2 shown]
	v_add_f64 v[60:61], v[68:69], v[72:73]
	v_add_f64 v[62:63], v[70:71], v[74:75]
	v_add_f64 v[64:65], v[72:73], -v[68:69]
	v_add_f64 v[66:67], v[74:75], -v[70:71]
	v_add_f64 v[68:69], v[48:49], v[40:41]
	v_add_f64 v[70:71], v[50:51], v[42:43]
	v_add_f64 v[72:73], v[48:49], -v[40:41]
	v_add_f64 v[74:75], v[50:51], -v[42:43]
	v_add_f64 v[40:41], v[40:41], -v[60:61]
	v_add_f64 v[42:43], v[42:43], -v[62:63]
	v_add_f64 v[48:49], v[60:61], -v[48:49]
	v_add_f64 v[50:51], v[62:63], -v[50:51]
	v_add_f64 v[76:77], v[64:65], v[52:53]
	v_add_f64 v[78:79], v[66:67], v[54:55]
	v_add_f64 v[80:81], v[64:65], -v[52:53]
	v_add_f64 v[82:83], v[66:67], -v[54:55]
	;; [unrolled: 1-line block ×4, first 2 shown]
	v_add_f64 v[60:61], v[60:61], v[68:69]
	v_add_f64 v[62:63], v[62:63], v[70:71]
	v_add_f64 v[64:65], v[44:45], -v[64:65]
	v_add_f64 v[66:67], v[46:47], -v[66:67]
	v_add_f64 v[44:45], v[76:77], v[44:45]
	v_add_f64 v[46:47], v[78:79], v[46:47]
	v_mul_f64 v[40:41], v[40:41], s[8:9]
	v_mul_f64 v[42:43], v[42:43], s[8:9]
	;; [unrolled: 1-line block ×6, first 2 shown]
	v_add_f64 v[36:37], v[36:37], v[60:61]
	v_add_f64 v[38:39], v[38:39], v[62:63]
	v_mul_f64 v[80:81], v[52:53], s[2:3]
	v_mul_f64 v[82:83], v[54:55], s[2:3]
	s_waitcnt vmcnt(1)
	v_mul_f64 v[159:160], v[58:59], v[133:134]
	v_mul_f64 v[133:134], v[56:57], v[133:134]
	s_waitcnt vmcnt(0)
	v_mul_f64 v[161:162], v[34:35], v[137:138]
	v_mul_f64 v[137:138], v[32:33], v[137:138]
	v_fma_f64 v[48:49], v[48:49], s[14:15], v[40:41]
	v_fma_f64 v[50:51], v[50:51], s[14:15], v[42:43]
	v_fma_f64 v[68:69], v[72:73], s[18:19], -v[68:69]
	v_fma_f64 v[70:71], v[74:75], s[18:19], -v[70:71]
	v_fma_f64 v[60:61], v[60:61], s[6:7], v[36:37]
	v_fma_f64 v[62:63], v[62:63], s[6:7], v[38:39]
	v_fma_f64 v[40:41], v[72:73], s[20:21], -v[40:41]
	v_fma_f64 v[42:43], v[74:75], s[20:21], -v[42:43]
	;; [unrolled: 4-line block ×3, first 2 shown]
	v_fma_f64 v[64:65], v[64:65], s[26:27], -v[80:81]
	v_fma_f64 v[66:67], v[66:67], s[26:27], -v[82:83]
	v_fma_f64 v[56:57], v[56:57], v[131:132], v[159:160]
	v_fma_f64 v[58:59], v[58:59], v[131:132], -v[133:134]
	v_add_f64 v[76:77], v[48:49], v[60:61]
	v_add_f64 v[78:79], v[50:51], v[62:63]
	;; [unrolled: 1-line block ×6, first 2 shown]
	v_fma_f64 v[68:69], v[46:47], s[22:23], v[74:75]
	v_fma_f64 v[70:71], v[44:45], s[22:23], v[72:73]
	;; [unrolled: 1-line block ×7, first 2 shown]
	v_fma_f64 v[74:75], v[34:35], v[135:136], -v[137:138]
	v_add_f64 v[80:81], v[99:100], v[103:104]
	v_add_f64 v[82:83], v[101:102], v[105:106]
	;; [unrolled: 1-line block ×3, first 2 shown]
	v_add_f64 v[42:43], v[62:63], -v[64:65]
	v_add_f64 v[44:45], v[48:49], -v[54:55]
	v_add_f64 v[46:47], v[52:53], v[50:51]
	v_add_f64 v[48:49], v[54:55], v[48:49]
	v_add_f64 v[50:51], v[50:51], -v[52:53]
	v_add_f64 v[52:53], v[60:61], -v[66:67]
	v_add_f64 v[54:55], v[64:65], v[62:63]
	v_add_f64 v[60:61], v[91:92], v[72:73]
	;; [unrolled: 1-line block ×3, first 2 shown]
	v_add_f64 v[64:65], v[91:92], -v[72:73]
	v_add_f64 v[66:67], v[93:94], -v[74:75]
	v_add_f64 v[72:73], v[95:96], v[56:57]
	v_add_f64 v[74:75], v[97:98], v[58:59]
	v_add_f64 v[56:57], v[95:96], -v[56:57]
	v_add_f64 v[58:59], v[97:98], -v[58:59]
	;; [unrolled: 1-line block ×4, first 2 shown]
	v_add_f64 v[32:33], v[68:69], v[76:77]
	v_add_f64 v[34:35], v[78:79], -v[70:71]
	v_add_f64 v[95:96], v[72:73], v[60:61]
	v_add_f64 v[97:98], v[74:75], v[62:63]
	v_add_f64 v[99:100], v[72:73], -v[60:61]
	v_add_f64 v[101:102], v[74:75], -v[62:63]
	;; [unrolled: 1-line block ×6, first 2 shown]
	v_add_f64 v[103:104], v[91:92], v[56:57]
	v_add_f64 v[105:106], v[93:94], v[58:59]
	v_add_f64 v[107:108], v[91:92], -v[56:57]
	v_add_f64 v[109:110], v[93:94], -v[58:59]
	v_add_f64 v[80:81], v[80:81], v[95:96]
	v_add_f64 v[82:83], v[82:83], v[97:98]
	v_add_f64 v[56:57], v[56:57], -v[64:65]
	v_add_f64 v[58:59], v[58:59], -v[66:67]
	;; [unrolled: 1-line block ×4, first 2 shown]
	v_add_f64 v[64:65], v[103:104], v[64:65]
	v_add_f64 v[66:67], v[105:106], v[66:67]
	;; [unrolled: 1-line block ×4, first 2 shown]
	v_mul_f64 v[60:61], v[60:61], s[8:9]
	v_mul_f64 v[62:63], v[62:63], s[8:9]
	;; [unrolled: 1-line block ×8, first 2 shown]
	v_fma_f64 v[80:81], v[80:81], s[6:7], v[28:29]
	v_fma_f64 v[82:83], v[82:83], s[6:7], v[30:31]
	;; [unrolled: 1-line block ×4, first 2 shown]
	v_fma_f64 v[95:96], v[99:100], s[18:19], -v[95:96]
	v_fma_f64 v[97:98], v[101:102], s[18:19], -v[97:98]
	;; [unrolled: 1-line block ×4, first 2 shown]
	v_fma_f64 v[99:100], v[91:92], s[24:25], v[103:104]
	v_fma_f64 v[101:102], v[93:94], s[24:25], v[105:106]
	v_fma_f64 v[56:57], v[56:57], s[2:3], -v[103:104]
	v_fma_f64 v[58:59], v[58:59], s[2:3], -v[105:106]
	;; [unrolled: 1-line block ×4, first 2 shown]
	v_add_f64 v[103:104], v[72:73], v[80:81]
	v_add_f64 v[105:106], v[74:75], v[82:83]
	;; [unrolled: 1-line block ×6, first 2 shown]
	v_fma_f64 v[95:96], v[66:67], s[22:23], v[101:102]
	v_fma_f64 v[97:98], v[64:65], s[22:23], v[99:100]
	;; [unrolled: 1-line block ×6, first 2 shown]
	v_add_f64 v[56:57], v[76:77], -v[68:69]
	v_add_f64 v[58:59], v[70:71], v[78:79]
	v_add_f64 v[60:61], v[95:96], v[103:104]
	v_add_f64 v[62:63], v[105:106], -v[97:98]
	v_add_f64 v[64:65], v[93:94], v[80:81]
	v_add_f64 v[66:67], v[82:83], -v[91:92]
	v_add_f64 v[68:69], v[72:73], -v[99:100]
	v_add_f64 v[70:71], v[101:102], v[74:75]
	v_add_f64 v[72:73], v[99:100], v[72:73]
	v_add_f64 v[74:75], v[74:75], -v[101:102]
	v_add_f64 v[76:77], v[80:81], -v[93:94]
	v_add_f64 v[78:79], v[91:92], v[82:83]
	v_add_f64 v[80:81], v[103:104], -v[95:96]
	v_add_f64 v[82:83], v[97:98], v[105:106]
	ds_write_b128 v90, v[36:39]
	ds_write_b128 v90, v[32:35] offset:2880
	ds_write_b128 v90, v[40:43] offset:5760
	;; [unrolled: 1-line block ×13, first 2 shown]
	s_and_saveexec_b64 s[28:29], vcc
	s_cbranch_execz .LBB0_31
; %bb.30:
	v_subrev_u32_e32 v28, 54, v86
	v_cndmask_b32_e32 v28, v28, v87, vcc
	v_mul_i32_i24_e32 v28, 6, v28
	v_mov_b32_e32 v29, 0
	v_lshlrev_b64 v[28:29], 4, v[28:29]
	v_mov_b32_e32 v30, s13
	v_add_co_u32_e32 v52, vcc, s12, v28
	v_addc_co_u32_e32 v53, vcc, v30, v29, vcc
	global_load_dwordx4 v[28:31], v[52:53], off offset:2896
	global_load_dwordx4 v[32:35], v[52:53], off offset:2880
	;; [unrolled: 1-line block ×6, first 2 shown]
	s_waitcnt vmcnt(5)
	v_mul_f64 v[52:53], v[22:23], v[30:31]
	s_waitcnt vmcnt(4)
	v_mul_f64 v[54:55], v[18:19], v[34:35]
	;; [unrolled: 2-line block ×6, first 2 shown]
	v_mul_f64 v[38:39], v[12:13], v[38:39]
	v_mul_f64 v[42:43], v[24:25], v[42:43]
	;; [unrolled: 1-line block ×6, first 2 shown]
	v_fma_f64 v[12:13], v[12:13], v[36:37], v[56:57]
	v_fma_f64 v[24:25], v[24:25], v[40:41], v[58:59]
	;; [unrolled: 1-line block ×4, first 2 shown]
	v_fma_f64 v[14:15], v[14:15], v[36:37], -v[38:39]
	v_fma_f64 v[26:27], v[26:27], v[40:41], -v[42:43]
	;; [unrolled: 1-line block ×4, first 2 shown]
	v_fma_f64 v[20:21], v[20:21], v[28:29], v[52:53]
	v_fma_f64 v[16:17], v[16:17], v[32:33], v[54:55]
	v_fma_f64 v[18:19], v[18:19], v[32:33], -v[34:35]
	v_fma_f64 v[22:23], v[22:23], v[28:29], -v[30:31]
	v_add_f64 v[30:31], v[12:13], -v[24:25]
	v_add_f64 v[32:33], v[8:9], -v[0:1]
	v_add_f64 v[36:37], v[14:15], v[26:27]
	v_add_f64 v[38:39], v[10:11], v[2:3]
	;; [unrolled: 1-line block ×4, first 2 shown]
	v_add_f64 v[28:29], v[20:21], -v[16:17]
	v_add_f64 v[34:35], v[18:19], v[22:23]
	v_add_f64 v[16:17], v[16:17], v[20:21]
	v_add_f64 v[8:9], v[22:23], -v[18:19]
	v_add_f64 v[14:15], v[14:15], -v[26:27]
	v_add_f64 v[26:27], v[36:37], v[38:39]
	v_add_f64 v[2:3], v[10:11], -v[2:3]
	v_add_f64 v[42:43], v[12:13], v[0:1]
	v_add_f64 v[10:11], v[28:29], v[30:31]
	v_add_f64 v[18:19], v[28:29], -v[30:31]
	v_add_f64 v[20:21], v[32:33], -v[28:29]
	;; [unrolled: 1-line block ×6, first 2 shown]
	v_add_f64 v[44:45], v[8:9], v[14:15]
	v_add_f64 v[46:47], v[8:9], -v[14:15]
	v_add_f64 v[26:27], v[34:35], v[26:27]
	v_add_f64 v[16:17], v[16:17], v[42:43]
	v_add_f64 v[30:31], v[30:31], -v[32:33]
	v_add_f64 v[14:15], v[14:15], -v[2:3]
	;; [unrolled: 1-line block ×5, first 2 shown]
	v_add_f64 v[10:11], v[10:11], v[32:33]
	v_mul_f64 v[18:19], v[18:19], s[16:17]
	v_mul_f64 v[32:33], v[22:23], s[14:15]
	;; [unrolled: 1-line block ×4, first 2 shown]
	v_add_f64 v[40:41], v[44:45], v[2:3]
	v_mul_f64 v[42:43], v[46:47], s[16:17]
	v_add_f64 v[2:3], v[6:7], v[26:27]
	v_add_f64 v[0:1], v[4:5], v[16:17]
	v_mul_f64 v[44:45], v[30:31], s[2:3]
	v_mul_f64 v[46:47], v[14:15], s[2:3]
	;; [unrolled: 1-line block ×3, first 2 shown]
	v_fma_f64 v[48:49], v[20:21], s[24:25], v[18:19]
	v_fma_f64 v[22:23], v[22:23], s[14:15], v[24:25]
	;; [unrolled: 1-line block ×4, first 2 shown]
	v_fma_f64 v[24:25], v[36:37], s[20:21], -v[24:25]
	v_fma_f64 v[32:33], v[36:37], s[18:19], -v[32:33]
	;; [unrolled: 1-line block ×3, first 2 shown]
	v_fma_f64 v[26:27], v[26:27], s[6:7], v[2:3]
	v_fma_f64 v[16:17], v[16:17], s[6:7], v[0:1]
	v_fma_f64 v[20:21], v[20:21], s[26:27], -v[44:45]
	v_fma_f64 v[28:29], v[12:13], s[20:21], -v[38:39]
	;; [unrolled: 1-line block ×5, first 2 shown]
	v_fma_f64 v[30:31], v[10:11], s[22:23], v[48:49]
	v_fma_f64 v[4:5], v[40:41], s[22:23], v[4:5]
	;; [unrolled: 1-line block ×3, first 2 shown]
	v_add_f64 v[34:35], v[22:23], v[26:27]
	v_add_f64 v[22:23], v[24:25], v[26:27]
	v_add_f64 v[24:25], v[32:33], v[26:27]
	v_add_f64 v[36:37], v[6:7], v[16:17]
	v_fma_f64 v[20:21], v[10:11], s[22:23], v[20:21]
	v_fma_f64 v[8:9], v[40:41], s[22:23], v[8:9]
	v_add_f64 v[28:29], v[28:29], v[16:17]
	v_fma_f64 v[32:33], v[40:41], s[22:23], v[14:15]
	v_add_f64 v[12:13], v[12:13], v[16:17]
	v_add_f64 v[26:27], v[34:35], -v[30:31]
	v_add_f64 v[14:15], v[24:25], -v[18:19]
	v_add_f64 v[18:19], v[18:19], v[24:25]
	v_add_f64 v[24:25], v[4:5], v[36:37]
	;; [unrolled: 1-line block ×3, first 2 shown]
	v_add_f64 v[22:23], v[22:23], -v[20:21]
	v_add_f64 v[20:21], v[8:9], v[28:29]
	v_add_f64 v[16:17], v[12:13], -v[32:33]
	v_add_f64 v[12:13], v[32:33], v[12:13]
	;; [unrolled: 2-line block ×3, first 2 shown]
	v_add_f64 v[4:5], v[36:37], -v[4:5]
	ds_write_b128 v90, v[0:3] offset:2016
	ds_write_b128 v90, v[24:27] offset:4896
	;; [unrolled: 1-line block ×7, first 2 shown]
.LBB0_31:
	s_or_b64 exec, exec, s[28:29]
	s_waitcnt lgkmcnt(0)
	; wave barrier
	s_waitcnt lgkmcnt(0)
	s_and_saveexec_b64 s[2:3], s[0:1]
	s_cbranch_execz .LBB0_33
; %bb.32:
	v_mul_lo_u32 v0, s5, v88
	v_mul_lo_u32 v1, s4, v89
	v_mad_u64_u32 v[4:5], s[0:1], s4, v88, 0
	v_mov_b32_e32 v6, s11
	v_lshl_add_u32 v10, v86, 4, 0
	v_add3_u32 v5, v5, v1, v0
	v_lshlrev_b64 v[4:5], 4, v[4:5]
	v_mov_b32_e32 v87, 0
	v_add_co_u32_e32 v7, vcc, s10, v4
	v_addc_co_u32_e32 v6, vcc, v6, v5, vcc
	v_lshlrev_b64 v[4:5], 4, v[84:85]
	ds_read_b128 v[0:3], v10
	v_add_co_u32_e32 v11, vcc, v7, v4
	v_addc_co_u32_e32 v12, vcc, v6, v5, vcc
	v_lshlrev_b64 v[4:5], 4, v[86:87]
	v_add_co_u32_e32 v8, vcc, v11, v4
	v_addc_co_u32_e32 v9, vcc, v12, v5, vcc
	ds_read_b128 v[4:7], v10 offset:1008
	s_waitcnt lgkmcnt(1)
	global_store_dwordx4 v[8:9], v[0:3], off
	s_nop 0
	v_add_u32_e32 v0, 63, v86
	v_mov_b32_e32 v1, v87
	v_lshlrev_b64 v[0:1], 4, v[0:1]
	v_add_co_u32_e32 v0, vcc, v11, v0
	v_addc_co_u32_e32 v1, vcc, v12, v1, vcc
	s_waitcnt lgkmcnt(0)
	global_store_dwordx4 v[0:1], v[4:7], off
	ds_read_b128 v[0:3], v10 offset:2016
	v_add_u32_e32 v4, 0x7e, v86
	v_mov_b32_e32 v5, v87
	v_lshlrev_b64 v[4:5], 4, v[4:5]
	v_add_co_u32_e32 v8, vcc, v11, v4
	v_addc_co_u32_e32 v9, vcc, v12, v5, vcc
	ds_read_b128 v[4:7], v10 offset:3024
	s_waitcnt lgkmcnt(1)
	global_store_dwordx4 v[8:9], v[0:3], off
	s_nop 0
	v_add_u32_e32 v0, 0xbd, v86
	v_mov_b32_e32 v1, v87
	v_lshlrev_b64 v[0:1], 4, v[0:1]
	v_add_co_u32_e32 v0, vcc, v11, v0
	v_addc_co_u32_e32 v1, vcc, v12, v1, vcc
	s_waitcnt lgkmcnt(0)
	global_store_dwordx4 v[0:1], v[4:7], off
	ds_read_b128 v[0:3], v10 offset:4032
	v_add_u32_e32 v4, 0xfc, v86
	v_mov_b32_e32 v5, v87
	;; [unrolled: 17-line block ×9, first 2 shown]
	v_lshlrev_b64 v[4:5], 4, v[4:5]
	v_add_u32_e32 v86, 0x4ad, v86
	v_add_co_u32_e32 v8, vcc, v11, v4
	v_addc_co_u32_e32 v9, vcc, v12, v5, vcc
	ds_read_b128 v[4:7], v10 offset:19152
	s_waitcnt lgkmcnt(1)
	global_store_dwordx4 v[8:9], v[0:3], off
	s_nop 0
	v_lshlrev_b64 v[0:1], 4, v[86:87]
	v_add_co_u32_e32 v0, vcc, v11, v0
	v_addc_co_u32_e32 v1, vcc, v12, v1, vcc
	s_waitcnt lgkmcnt(0)
	global_store_dwordx4 v[0:1], v[4:7], off
.LBB0_33:
	s_endpgm
	.section	.rodata,"a",@progbits
	.p2align	6, 0x0
	.amdhsa_kernel fft_rtc_back_len1260_factors_2_2_3_3_5_7_wgs_63_tpt_63_halfLds_dp_op_CI_CI_unitstride_sbrr_C2R_dirReg
		.amdhsa_group_segment_fixed_size 0
		.amdhsa_private_segment_fixed_size 0
		.amdhsa_kernarg_size 104
		.amdhsa_user_sgpr_count 6
		.amdhsa_user_sgpr_private_segment_buffer 1
		.amdhsa_user_sgpr_dispatch_ptr 0
		.amdhsa_user_sgpr_queue_ptr 0
		.amdhsa_user_sgpr_kernarg_segment_ptr 1
		.amdhsa_user_sgpr_dispatch_id 0
		.amdhsa_user_sgpr_flat_scratch_init 0
		.amdhsa_user_sgpr_private_segment_size 0
		.amdhsa_uses_dynamic_stack 0
		.amdhsa_system_sgpr_private_segment_wavefront_offset 0
		.amdhsa_system_sgpr_workgroup_id_x 1
		.amdhsa_system_sgpr_workgroup_id_y 0
		.amdhsa_system_sgpr_workgroup_id_z 0
		.amdhsa_system_sgpr_workgroup_info 0
		.amdhsa_system_vgpr_workitem_id 0
		.amdhsa_next_free_vgpr 192
		.amdhsa_next_free_sgpr 30
		.amdhsa_reserve_vcc 1
		.amdhsa_reserve_flat_scratch 0
		.amdhsa_float_round_mode_32 0
		.amdhsa_float_round_mode_16_64 0
		.amdhsa_float_denorm_mode_32 3
		.amdhsa_float_denorm_mode_16_64 3
		.amdhsa_dx10_clamp 1
		.amdhsa_ieee_mode 1
		.amdhsa_fp16_overflow 0
		.amdhsa_exception_fp_ieee_invalid_op 0
		.amdhsa_exception_fp_denorm_src 0
		.amdhsa_exception_fp_ieee_div_zero 0
		.amdhsa_exception_fp_ieee_overflow 0
		.amdhsa_exception_fp_ieee_underflow 0
		.amdhsa_exception_fp_ieee_inexact 0
		.amdhsa_exception_int_div_zero 0
	.end_amdhsa_kernel
	.text
.Lfunc_end0:
	.size	fft_rtc_back_len1260_factors_2_2_3_3_5_7_wgs_63_tpt_63_halfLds_dp_op_CI_CI_unitstride_sbrr_C2R_dirReg, .Lfunc_end0-fft_rtc_back_len1260_factors_2_2_3_3_5_7_wgs_63_tpt_63_halfLds_dp_op_CI_CI_unitstride_sbrr_C2R_dirReg
                                        ; -- End function
	.section	.AMDGPU.csdata,"",@progbits
; Kernel info:
; codeLenInByte = 17308
; NumSgprs: 34
; NumVgprs: 192
; ScratchSize: 0
; MemoryBound: 0
; FloatMode: 240
; IeeeMode: 1
; LDSByteSize: 0 bytes/workgroup (compile time only)
; SGPRBlocks: 4
; VGPRBlocks: 47
; NumSGPRsForWavesPerEU: 34
; NumVGPRsForWavesPerEU: 192
; Occupancy: 1
; WaveLimiterHint : 1
; COMPUTE_PGM_RSRC2:SCRATCH_EN: 0
; COMPUTE_PGM_RSRC2:USER_SGPR: 6
; COMPUTE_PGM_RSRC2:TRAP_HANDLER: 0
; COMPUTE_PGM_RSRC2:TGID_X_EN: 1
; COMPUTE_PGM_RSRC2:TGID_Y_EN: 0
; COMPUTE_PGM_RSRC2:TGID_Z_EN: 0
; COMPUTE_PGM_RSRC2:TIDIG_COMP_CNT: 0
	.type	__hip_cuid_2e350c0b85ef2981,@object ; @__hip_cuid_2e350c0b85ef2981
	.section	.bss,"aw",@nobits
	.globl	__hip_cuid_2e350c0b85ef2981
__hip_cuid_2e350c0b85ef2981:
	.byte	0                               ; 0x0
	.size	__hip_cuid_2e350c0b85ef2981, 1

	.ident	"AMD clang version 19.0.0git (https://github.com/RadeonOpenCompute/llvm-project roc-6.4.0 25133 c7fe45cf4b819c5991fe208aaa96edf142730f1d)"
	.section	".note.GNU-stack","",@progbits
	.addrsig
	.addrsig_sym __hip_cuid_2e350c0b85ef2981
	.amdgpu_metadata
---
amdhsa.kernels:
  - .args:
      - .actual_access:  read_only
        .address_space:  global
        .offset:         0
        .size:           8
        .value_kind:     global_buffer
      - .offset:         8
        .size:           8
        .value_kind:     by_value
      - .actual_access:  read_only
        .address_space:  global
        .offset:         16
        .size:           8
        .value_kind:     global_buffer
      - .actual_access:  read_only
        .address_space:  global
        .offset:         24
        .size:           8
        .value_kind:     global_buffer
      - .actual_access:  read_only
        .address_space:  global
        .offset:         32
        .size:           8
        .value_kind:     global_buffer
      - .offset:         40
        .size:           8
        .value_kind:     by_value
      - .actual_access:  read_only
        .address_space:  global
        .offset:         48
        .size:           8
        .value_kind:     global_buffer
      - .actual_access:  read_only
        .address_space:  global
        .offset:         56
        .size:           8
        .value_kind:     global_buffer
      - .offset:         64
        .size:           4
        .value_kind:     by_value
      - .actual_access:  read_only
        .address_space:  global
        .offset:         72
        .size:           8
        .value_kind:     global_buffer
      - .actual_access:  read_only
        .address_space:  global
        .offset:         80
        .size:           8
        .value_kind:     global_buffer
      - .actual_access:  read_only
        .address_space:  global
        .offset:         88
        .size:           8
        .value_kind:     global_buffer
      - .actual_access:  write_only
        .address_space:  global
        .offset:         96
        .size:           8
        .value_kind:     global_buffer
    .group_segment_fixed_size: 0
    .kernarg_segment_align: 8
    .kernarg_segment_size: 104
    .language:       OpenCL C
    .language_version:
      - 2
      - 0
    .max_flat_workgroup_size: 63
    .name:           fft_rtc_back_len1260_factors_2_2_3_3_5_7_wgs_63_tpt_63_halfLds_dp_op_CI_CI_unitstride_sbrr_C2R_dirReg
    .private_segment_fixed_size: 0
    .sgpr_count:     34
    .sgpr_spill_count: 0
    .symbol:         fft_rtc_back_len1260_factors_2_2_3_3_5_7_wgs_63_tpt_63_halfLds_dp_op_CI_CI_unitstride_sbrr_C2R_dirReg.kd
    .uniform_work_group_size: 1
    .uses_dynamic_stack: false
    .vgpr_count:     192
    .vgpr_spill_count: 0
    .wavefront_size: 64
amdhsa.target:   amdgcn-amd-amdhsa--gfx906
amdhsa.version:
  - 1
  - 2
...

	.end_amdgpu_metadata
